;; amdgpu-corpus repo=ROCm/rocSPARSE kind=compiled arch=gfx1100 opt=O3
	.text
	.amdgcn_target "amdgcn-amd-amdhsa--gfx1100"
	.amdhsa_code_object_version 6
	.section	.text._ZN9rocsparseL22gebsrmvn_mxn_16_kernelILj52ELj13ELj1EfEEvi20rocsparse_direction_NS_24const_host_device_scalarIT2_EEPKiS6_PKS3_iiS8_S4_PS3_21rocsparse_index_base_b,"axG",@progbits,_ZN9rocsparseL22gebsrmvn_mxn_16_kernelILj52ELj13ELj1EfEEvi20rocsparse_direction_NS_24const_host_device_scalarIT2_EEPKiS6_PKS3_iiS8_S4_PS3_21rocsparse_index_base_b,comdat
	.globl	_ZN9rocsparseL22gebsrmvn_mxn_16_kernelILj52ELj13ELj1EfEEvi20rocsparse_direction_NS_24const_host_device_scalarIT2_EEPKiS6_PKS3_iiS8_S4_PS3_21rocsparse_index_base_b ; -- Begin function _ZN9rocsparseL22gebsrmvn_mxn_16_kernelILj52ELj13ELj1EfEEvi20rocsparse_direction_NS_24const_host_device_scalarIT2_EEPKiS6_PKS3_iiS8_S4_PS3_21rocsparse_index_base_b
	.p2align	8
	.type	_ZN9rocsparseL22gebsrmvn_mxn_16_kernelILj52ELj13ELj1EfEEvi20rocsparse_direction_NS_24const_host_device_scalarIT2_EEPKiS6_PKS3_iiS8_S4_PS3_21rocsparse_index_base_b,@function
_ZN9rocsparseL22gebsrmvn_mxn_16_kernelILj52ELj13ELj1EfEEvi20rocsparse_direction_NS_24const_host_device_scalarIT2_EEPKiS6_PKS3_iiS8_S4_PS3_21rocsparse_index_base_b: ; @_ZN9rocsparseL22gebsrmvn_mxn_16_kernelILj52ELj13ELj1EfEEvi20rocsparse_direction_NS_24const_host_device_scalarIT2_EEPKiS6_PKS3_iiS8_S4_PS3_21rocsparse_index_base_b
; %bb.0:
	s_mov_b32 s8, s15
	s_clause 0x2
	s_load_b64 s[14:15], s[0:1], 0x48
	s_load_b64 s[10:11], s[0:1], 0x8
	;; [unrolled: 1-line block ×3, first 2 shown]
	s_waitcnt lgkmcnt(0)
	s_bitcmp1_b32 s15, 0
	s_cselect_b32 s4, -1, 0
	s_delay_alu instid0(SALU_CYCLE_1)
	s_and_b32 vcc_lo, exec_lo, s4
	s_xor_b32 s4, s4, -1
	s_cbranch_vccnz .LBB0_2
; %bb.1:
	s_load_b32 s10, s[10:11], 0x0
.LBB0_2:
	s_and_not1_b32 vcc_lo, exec_lo, s4
	s_cbranch_vccnz .LBB0_4
; %bb.3:
	s_load_b32 s2, s[2:3], 0x0
.LBB0_4:
	s_waitcnt lgkmcnt(0)
	v_cmp_eq_f32_e64 s3, s10, 0
	v_cmp_eq_f32_e64 s4, s2, 1.0
	s_delay_alu instid0(VALU_DEP_1) | instskip(NEXT) | instid1(SALU_CYCLE_1)
	s_and_b32 s3, s3, s4
	s_and_b32 vcc_lo, exec_lo, s3
	s_cbranch_vccnz .LBB0_22
; %bb.5:
	s_load_b64 s[4:5], s[0:1], 0x10
	s_ashr_i32 s9, s8, 31
	s_delay_alu instid0(SALU_CYCLE_1)
	s_lshl_b64 s[6:7], s[8:9], 2
	s_waitcnt lgkmcnt(0)
	s_add_u32 s4, s4, s6
	s_addc_u32 s5, s5, s7
	s_load_b64 s[16:17], s[4:5], 0x0
	s_waitcnt lgkmcnt(0)
	s_cmp_lt_i32 s16, s17
	s_cbranch_scc1 .LBB0_7
; %bb.6:
	s_mov_b32 s4, 0
	s_load_b64 s[12:13], s[0:1], 0x40
	v_mov_b32_e32 v5, s4
	s_cbranch_execz .LBB0_8
	s_branch .LBB0_12
.LBB0_7:
                                        ; implicit-def: $sgpr4
	s_load_b64 s[12:13], s[0:1], 0x40
	v_mov_b32_e32 v5, s4
.LBB0_8:
	s_clause 0x1
	s_load_b128 s[4:7], s[0:1], 0x18
	s_load_b64 s[0:1], s[0:1], 0x30
	v_mad_u64_u32 v[1:2], null, s16, 13, v[0:1]
	v_mul_u32_u24_e32 v3, 0x13b2, v0
	v_mov_b32_e32 v2, 0
	s_mul_i32 s3, s14, 13
	s_sub_i32 s9, s16, s14
	s_delay_alu instid0(VALU_DEP_2) | instskip(NEXT) | instid1(VALU_DEP_4)
	v_lshrrev_b32_e32 v6, 16, v3
	v_subrev_nc_u32_e32 v1, s3, v1
	v_mov_b32_e32 v5, v2
	s_sub_i32 s3, s17, s14
	s_set_inst_prefetch_distance 0x1
	s_branch .LBB0_10
	.p2align	6
.LBB0_9:                                ;   in Loop: Header=BB0_10 Depth=1
	s_or_b32 exec_lo, exec_lo, s11
	v_add_nc_u32_e32 v1, 52, v1
	s_add_i32 s9, s9, 4
	s_delay_alu instid0(SALU_CYCLE_1)
	s_cmp_ge_i32 s9, s3
	s_cbranch_scc1 .LBB0_12
.LBB0_10:                               ; =>This Inner Loop Header: Depth=1
	v_add_nc_u32_e32 v3, s9, v6
	s_mov_b32 s11, exec_lo
	s_delay_alu instid0(VALU_DEP_1)
	v_cmpx_gt_i32_e64 s3, v3
	s_cbranch_execz .LBB0_9
; %bb.11:                               ;   in Loop: Header=BB0_10 Depth=1
	v_ashrrev_i32_e32 v4, 31, v3
	v_lshlrev_b64 v[7:8], 2, v[1:2]
	s_delay_alu instid0(VALU_DEP_2) | instskip(SKIP_1) | instid1(VALU_DEP_1)
	v_lshlrev_b64 v[3:4], 2, v[3:4]
	s_waitcnt lgkmcnt(0)
	v_add_co_u32 v3, vcc_lo, s4, v3
	s_delay_alu instid0(VALU_DEP_2) | instskip(NEXT) | instid1(VALU_DEP_4)
	v_add_co_ci_u32_e32 v4, vcc_lo, s5, v4, vcc_lo
	v_add_co_u32 v7, vcc_lo, s6, v7
	v_add_co_ci_u32_e32 v8, vcc_lo, s7, v8, vcc_lo
	global_load_b32 v3, v[3:4], off
	s_waitcnt vmcnt(0)
	v_subrev_nc_u32_e32 v3, s14, v3
	s_delay_alu instid0(VALU_DEP_1) | instskip(NEXT) | instid1(VALU_DEP_1)
	v_ashrrev_i32_e32 v4, 31, v3
	v_lshlrev_b64 v[3:4], 2, v[3:4]
	s_delay_alu instid0(VALU_DEP_1) | instskip(NEXT) | instid1(VALU_DEP_2)
	v_add_co_u32 v3, vcc_lo, s0, v3
	v_add_co_ci_u32_e32 v4, vcc_lo, s1, v4, vcc_lo
	global_load_b32 v7, v[7:8], off
	global_load_b32 v3, v[3:4], off
	s_waitcnt vmcnt(0)
	v_fmac_f32_e32 v5, v7, v3
	s_branch .LBB0_9
.LBB0_12:
	s_set_inst_prefetch_distance 0x2
	v_lshlrev_b32_e32 v1, 2, v0
	s_waitcnt lgkmcnt(0)
	s_mov_b32 s0, exec_lo
	ds_store_b32 v1, v5
	s_waitcnt lgkmcnt(0)
	s_barrier
	buffer_gl0_inv
	v_cmpx_gt_u32_e32 26, v0
	s_cbranch_execz .LBB0_14
; %bb.13:
	ds_load_2addr_b32 v[2:3], v1 offset1:26
	s_waitcnt lgkmcnt(0)
	v_add_f32_e32 v2, v3, v2
	ds_store_b32 v1, v2
.LBB0_14:
	s_or_b32 exec_lo, exec_lo, s0
	v_cmp_gt_u32_e32 vcc_lo, 13, v0
	s_waitcnt lgkmcnt(0)
	s_barrier
	buffer_gl0_inv
	s_and_saveexec_b32 s0, vcc_lo
	s_cbranch_execz .LBB0_16
; %bb.15:
	ds_load_2addr_b32 v[2:3], v1 offset1:13
	s_waitcnt lgkmcnt(0)
	v_add_f32_e32 v2, v3, v2
	ds_store_b32 v1, v2
.LBB0_16:
	s_or_b32 exec_lo, exec_lo, s0
	s_waitcnt lgkmcnt(0)
	s_barrier
	buffer_gl0_inv
	s_and_saveexec_b32 s0, vcc_lo
	s_cbranch_execz .LBB0_18
; %bb.17:
	ds_load_b32 v5, v1
.LBB0_18:
	s_or_b32 exec_lo, exec_lo, s0
	s_and_saveexec_b32 s0, vcc_lo
	s_cbranch_execz .LBB0_22
; %bb.19:
	v_cmp_eq_f32_e64 s0, s2, 0
	s_waitcnt lgkmcnt(0)
	v_mul_f32_e32 v1, s10, v5
	s_delay_alu instid0(VALU_DEP_2)
	s_and_b32 vcc_lo, exec_lo, s0
	s_mov_b32 s0, 0
	s_cbranch_vccz .LBB0_23
; %bb.20:
	s_delay_alu instid0(VALU_DEP_1) | instskip(SKIP_1) | instid1(VALU_DEP_1)
	v_mad_u64_u32 v[2:3], null, s8, 13, v[0:1]
	v_mov_b32_e32 v3, 0
	v_lshlrev_b64 v[2:3], 2, v[2:3]
	s_delay_alu instid0(VALU_DEP_1) | instskip(NEXT) | instid1(VALU_DEP_2)
	v_add_co_u32 v2, vcc_lo, s12, v2
	v_add_co_ci_u32_e32 v3, vcc_lo, s13, v3, vcc_lo
	global_store_b32 v[2:3], v1, off
	s_and_not1_b32 vcc_lo, exec_lo, s0
	s_cbranch_vccnz .LBB0_22
.LBB0_21:
	v_mad_u64_u32 v[2:3], null, s8, 13, v[0:1]
	v_mov_b32_e32 v3, 0
	s_delay_alu instid0(VALU_DEP_1) | instskip(NEXT) | instid1(VALU_DEP_1)
	v_lshlrev_b64 v[2:3], 2, v[2:3]
	v_add_co_u32 v2, vcc_lo, s12, v2
	s_delay_alu instid0(VALU_DEP_2)
	v_add_co_ci_u32_e32 v3, vcc_lo, s13, v3, vcc_lo
	global_load_b32 v0, v[2:3], off
	s_waitcnt vmcnt(0)
	v_fmac_f32_e32 v1, s2, v0
	global_store_b32 v[2:3], v1, off
.LBB0_22:
	s_nop 0
	s_sendmsg sendmsg(MSG_DEALLOC_VGPRS)
	s_endpgm
.LBB0_23:
	s_branch .LBB0_21
	.section	.rodata,"a",@progbits
	.p2align	6, 0x0
	.amdhsa_kernel _ZN9rocsparseL22gebsrmvn_mxn_16_kernelILj52ELj13ELj1EfEEvi20rocsparse_direction_NS_24const_host_device_scalarIT2_EEPKiS6_PKS3_iiS8_S4_PS3_21rocsparse_index_base_b
		.amdhsa_group_segment_fixed_size 208
		.amdhsa_private_segment_fixed_size 0
		.amdhsa_kernarg_size 80
		.amdhsa_user_sgpr_count 15
		.amdhsa_user_sgpr_dispatch_ptr 0
		.amdhsa_user_sgpr_queue_ptr 0
		.amdhsa_user_sgpr_kernarg_segment_ptr 1
		.amdhsa_user_sgpr_dispatch_id 0
		.amdhsa_user_sgpr_private_segment_size 0
		.amdhsa_wavefront_size32 1
		.amdhsa_uses_dynamic_stack 0
		.amdhsa_enable_private_segment 0
		.amdhsa_system_sgpr_workgroup_id_x 1
		.amdhsa_system_sgpr_workgroup_id_y 0
		.amdhsa_system_sgpr_workgroup_id_z 0
		.amdhsa_system_sgpr_workgroup_info 0
		.amdhsa_system_vgpr_workitem_id 0
		.amdhsa_next_free_vgpr 9
		.amdhsa_next_free_sgpr 18
		.amdhsa_reserve_vcc 1
		.amdhsa_float_round_mode_32 0
		.amdhsa_float_round_mode_16_64 0
		.amdhsa_float_denorm_mode_32 3
		.amdhsa_float_denorm_mode_16_64 3
		.amdhsa_dx10_clamp 1
		.amdhsa_ieee_mode 1
		.amdhsa_fp16_overflow 0
		.amdhsa_workgroup_processor_mode 1
		.amdhsa_memory_ordered 1
		.amdhsa_forward_progress 0
		.amdhsa_shared_vgpr_count 0
		.amdhsa_exception_fp_ieee_invalid_op 0
		.amdhsa_exception_fp_denorm_src 0
		.amdhsa_exception_fp_ieee_div_zero 0
		.amdhsa_exception_fp_ieee_overflow 0
		.amdhsa_exception_fp_ieee_underflow 0
		.amdhsa_exception_fp_ieee_inexact 0
		.amdhsa_exception_int_div_zero 0
	.end_amdhsa_kernel
	.section	.text._ZN9rocsparseL22gebsrmvn_mxn_16_kernelILj52ELj13ELj1EfEEvi20rocsparse_direction_NS_24const_host_device_scalarIT2_EEPKiS6_PKS3_iiS8_S4_PS3_21rocsparse_index_base_b,"axG",@progbits,_ZN9rocsparseL22gebsrmvn_mxn_16_kernelILj52ELj13ELj1EfEEvi20rocsparse_direction_NS_24const_host_device_scalarIT2_EEPKiS6_PKS3_iiS8_S4_PS3_21rocsparse_index_base_b,comdat
.Lfunc_end0:
	.size	_ZN9rocsparseL22gebsrmvn_mxn_16_kernelILj52ELj13ELj1EfEEvi20rocsparse_direction_NS_24const_host_device_scalarIT2_EEPKiS6_PKS3_iiS8_S4_PS3_21rocsparse_index_base_b, .Lfunc_end0-_ZN9rocsparseL22gebsrmvn_mxn_16_kernelILj52ELj13ELj1EfEEvi20rocsparse_direction_NS_24const_host_device_scalarIT2_EEPKiS6_PKS3_iiS8_S4_PS3_21rocsparse_index_base_b
                                        ; -- End function
	.section	.AMDGPU.csdata,"",@progbits
; Kernel info:
; codeLenInByte = 808
; NumSgprs: 20
; NumVgprs: 9
; ScratchSize: 0
; MemoryBound: 0
; FloatMode: 240
; IeeeMode: 1
; LDSByteSize: 208 bytes/workgroup (compile time only)
; SGPRBlocks: 2
; VGPRBlocks: 1
; NumSGPRsForWavesPerEU: 20
; NumVGPRsForWavesPerEU: 9
; Occupancy: 16
; WaveLimiterHint : 1
; COMPUTE_PGM_RSRC2:SCRATCH_EN: 0
; COMPUTE_PGM_RSRC2:USER_SGPR: 15
; COMPUTE_PGM_RSRC2:TRAP_HANDLER: 0
; COMPUTE_PGM_RSRC2:TGID_X_EN: 1
; COMPUTE_PGM_RSRC2:TGID_Y_EN: 0
; COMPUTE_PGM_RSRC2:TGID_Z_EN: 0
; COMPUTE_PGM_RSRC2:TIDIG_COMP_CNT: 0
	.section	.text._ZN9rocsparseL22gebsrmvn_mxn_16_kernelILj52ELj13ELj2EfEEvi20rocsparse_direction_NS_24const_host_device_scalarIT2_EEPKiS6_PKS3_iiS8_S4_PS3_21rocsparse_index_base_b,"axG",@progbits,_ZN9rocsparseL22gebsrmvn_mxn_16_kernelILj52ELj13ELj2EfEEvi20rocsparse_direction_NS_24const_host_device_scalarIT2_EEPKiS6_PKS3_iiS8_S4_PS3_21rocsparse_index_base_b,comdat
	.globl	_ZN9rocsparseL22gebsrmvn_mxn_16_kernelILj52ELj13ELj2EfEEvi20rocsparse_direction_NS_24const_host_device_scalarIT2_EEPKiS6_PKS3_iiS8_S4_PS3_21rocsparse_index_base_b ; -- Begin function _ZN9rocsparseL22gebsrmvn_mxn_16_kernelILj52ELj13ELj2EfEEvi20rocsparse_direction_NS_24const_host_device_scalarIT2_EEPKiS6_PKS3_iiS8_S4_PS3_21rocsparse_index_base_b
	.p2align	8
	.type	_ZN9rocsparseL22gebsrmvn_mxn_16_kernelILj52ELj13ELj2EfEEvi20rocsparse_direction_NS_24const_host_device_scalarIT2_EEPKiS6_PKS3_iiS8_S4_PS3_21rocsparse_index_base_b,@function
_ZN9rocsparseL22gebsrmvn_mxn_16_kernelILj52ELj13ELj2EfEEvi20rocsparse_direction_NS_24const_host_device_scalarIT2_EEPKiS6_PKS3_iiS8_S4_PS3_21rocsparse_index_base_b: ; @_ZN9rocsparseL22gebsrmvn_mxn_16_kernelILj52ELj13ELj2EfEEvi20rocsparse_direction_NS_24const_host_device_scalarIT2_EEPKiS6_PKS3_iiS8_S4_PS3_21rocsparse_index_base_b
; %bb.0:
	s_mov_b32 s8, s15
	s_clause 0x2
	s_load_b64 s[14:15], s[0:1], 0x48
	s_load_b64 s[10:11], s[0:1], 0x8
	;; [unrolled: 1-line block ×3, first 2 shown]
	s_waitcnt lgkmcnt(0)
	s_bitcmp1_b32 s15, 0
	s_cselect_b32 s4, -1, 0
	s_delay_alu instid0(SALU_CYCLE_1)
	s_and_b32 vcc_lo, exec_lo, s4
	s_xor_b32 s4, s4, -1
	s_cbranch_vccnz .LBB1_2
; %bb.1:
	s_load_b32 s10, s[10:11], 0x0
.LBB1_2:
	s_and_not1_b32 vcc_lo, exec_lo, s4
	s_cbranch_vccnz .LBB1_4
; %bb.3:
	s_load_b32 s2, s[2:3], 0x0
.LBB1_4:
	s_waitcnt lgkmcnt(0)
	v_cmp_eq_f32_e64 s3, s10, 0
	v_cmp_eq_f32_e64 s4, s2, 1.0
	s_delay_alu instid0(VALU_DEP_1) | instskip(NEXT) | instid1(SALU_CYCLE_1)
	s_and_b32 s3, s3, s4
	s_and_b32 vcc_lo, exec_lo, s3
	s_cbranch_vccnz .LBB1_30
; %bb.5:
	s_clause 0x1
	s_load_b32 s3, s[0:1], 0x4
	s_load_b64 s[4:5], s[0:1], 0x10
	v_and_b32_e32 v6, 1, v0
	s_delay_alu instid0(VALU_DEP_1) | instskip(SKIP_3) | instid1(SALU_CYCLE_1)
	v_mov_b32_e32 v7, v6
	s_waitcnt lgkmcnt(0)
	s_cmp_lg_u32 s3, 1
	s_cselect_b32 s3, -1, 0
	s_and_b32 vcc_lo, exec_lo, s3
	s_cbranch_vccnz .LBB1_7
; %bb.6:
	v_mul_u32_u24_e32 v1, 0x13b2, v0
	s_delay_alu instid0(VALU_DEP_1)
	v_bfe_u32 v7, v1, 16, 1
.LBB1_7:
	s_ashr_i32 s9, s8, 31
	v_mov_b32_e32 v5, 0
	s_lshl_b64 s[6:7], s[8:9], 2
	s_delay_alu instid0(SALU_CYCLE_1)
	s_add_u32 s4, s4, s6
	s_addc_u32 s5, s5, s7
	s_load_b64 s[16:17], s[4:5], 0x0
	s_load_b64 s[12:13], s[0:1], 0x40
	s_waitcnt lgkmcnt(0)
	s_cmp_ge_i32 s16, s17
	s_cbranch_scc1 .LBB1_12
; %bb.8:
	s_clause 0x1
	s_load_b128 s[4:7], s[0:1], 0x18
	s_load_b64 s[0:1], s[0:1], 0x30
	v_mad_u64_u32 v[1:2], null, s16, 26, v[0:1]
	v_mul_u32_u24_e32 v3, 0x9d9, v0
	v_mov_b32_e32 v2, 0
	s_mul_i32 s9, s14, 26
	s_sub_i32 s11, s16, s14
	s_delay_alu instid0(VALU_DEP_2) | instskip(NEXT) | instid1(VALU_DEP_4)
	v_lshrrev_b32_e32 v8, 16, v3
	v_subrev_nc_u32_e32 v1, s9, v1
	v_mov_b32_e32 v5, v2
	s_sub_i32 s9, s17, s14
	s_set_inst_prefetch_distance 0x1
	s_branch .LBB1_10
	.p2align	6
.LBB1_9:                                ;   in Loop: Header=BB1_10 Depth=1
	s_or_b32 exec_lo, exec_lo, s15
	v_add_nc_u32_e32 v1, 52, v1
	s_add_i32 s11, s11, 2
	s_delay_alu instid0(SALU_CYCLE_1)
	s_cmp_ge_i32 s11, s9
	s_cbranch_scc1 .LBB1_12
.LBB1_10:                               ; =>This Inner Loop Header: Depth=1
	v_add_nc_u32_e32 v3, s11, v8
	s_mov_b32 s15, exec_lo
	s_delay_alu instid0(VALU_DEP_1)
	v_cmpx_gt_i32_e64 s9, v3
	s_cbranch_execz .LBB1_9
; %bb.11:                               ;   in Loop: Header=BB1_10 Depth=1
	v_ashrrev_i32_e32 v4, 31, v3
	v_lshlrev_b64 v[9:10], 2, v[1:2]
	s_delay_alu instid0(VALU_DEP_2) | instskip(SKIP_1) | instid1(VALU_DEP_1)
	v_lshlrev_b64 v[3:4], 2, v[3:4]
	s_waitcnt lgkmcnt(0)
	v_add_co_u32 v3, vcc_lo, s4, v3
	s_delay_alu instid0(VALU_DEP_2) | instskip(NEXT) | instid1(VALU_DEP_4)
	v_add_co_ci_u32_e32 v4, vcc_lo, s5, v4, vcc_lo
	v_add_co_u32 v9, vcc_lo, s6, v9
	v_add_co_ci_u32_e32 v10, vcc_lo, s7, v10, vcc_lo
	global_load_b32 v3, v[3:4], off
	s_waitcnt vmcnt(0)
	v_subrev_nc_u32_e32 v3, s14, v3
	s_delay_alu instid0(VALU_DEP_1) | instskip(NEXT) | instid1(VALU_DEP_1)
	v_lshl_or_b32 v3, v3, 1, v7
	v_ashrrev_i32_e32 v4, 31, v3
	s_delay_alu instid0(VALU_DEP_1) | instskip(NEXT) | instid1(VALU_DEP_1)
	v_lshlrev_b64 v[3:4], 2, v[3:4]
	v_add_co_u32 v3, vcc_lo, s0, v3
	s_delay_alu instid0(VALU_DEP_2)
	v_add_co_ci_u32_e32 v4, vcc_lo, s1, v4, vcc_lo
	global_load_b32 v9, v[9:10], off
	global_load_b32 v3, v[3:4], off
	s_waitcnt vmcnt(0)
	v_fmac_f32_e32 v5, v9, v3
	s_branch .LBB1_9
.LBB1_12:
	s_set_inst_prefetch_distance 0x2
	v_lshlrev_b32_e32 v1, 2, v0
	s_waitcnt lgkmcnt(0)
	s_mov_b32 s0, exec_lo
	ds_store_b32 v1, v5
	s_waitcnt lgkmcnt(0)
	s_barrier
	buffer_gl0_inv
	v_cmpx_gt_u32_e32 26, v0
	s_cbranch_execz .LBB1_14
; %bb.13:
	ds_load_2addr_b32 v[2:3], v1 offset1:26
	s_waitcnt lgkmcnt(0)
	v_add_f32_e32 v2, v3, v2
	ds_store_b32 v1, v2
.LBB1_14:
	s_or_b32 exec_lo, exec_lo, s0
	s_delay_alu instid0(SALU_CYCLE_1)
	s_and_b32 vcc_lo, exec_lo, s3
	s_waitcnt lgkmcnt(0)
	s_barrier
	buffer_gl0_inv
	s_cbranch_vccz .LBB1_20
; %bb.15:
	s_mov_b32 s0, exec_lo
	v_cmpx_eq_u32_e32 0, v6
	s_cbranch_execz .LBB1_17
; %bb.16:
	ds_load_2addr_b32 v[2:3], v1 offset1:1
	s_waitcnt lgkmcnt(0)
	v_add_f32_e32 v2, v3, v2
	ds_store_b32 v1, v2
.LBB1_17:
	s_or_b32 exec_lo, exec_lo, s0
	v_mov_b32_e32 v2, v5
	s_mov_b32 s0, exec_lo
	s_waitcnt lgkmcnt(0)
	s_barrier
	buffer_gl0_inv
	v_cmpx_gt_u32_e32 13, v0
	s_cbranch_execz .LBB1_19
; %bb.18:
	v_lshl_add_u32 v2, v0, 2, v1
	ds_load_b32 v2, v2
.LBB1_19:
	s_or_b32 exec_lo, exec_lo, s0
	s_branch .LBB1_26
.LBB1_20:
                                        ; implicit-def: $vgpr2
	s_cbranch_execz .LBB1_26
; %bb.21:
	s_mov_b32 s0, exec_lo
	v_cmpx_lt_u32_e32 12, v0
	s_xor_b32 s0, exec_lo, s0
	s_cbranch_execz .LBB1_23
; %bb.22:
	s_waitcnt lgkmcnt(0)
	buffer_gl0_inv
                                        ; implicit-def: $vgpr1
.LBB1_23:
	s_and_not1_saveexec_b32 s0, s0
	s_cbranch_execz .LBB1_25
; %bb.24:
	s_waitcnt lgkmcnt(0)
	ds_load_2addr_b32 v[2:3], v1 offset1:13
	s_waitcnt lgkmcnt(0)
	v_add_f32_e32 v2, v3, v2
	ds_store_b32 v1, v2
	s_waitcnt lgkmcnt(0)
	buffer_gl0_inv
	ds_load_b32 v5, v1
.LBB1_25:
	s_or_b32 exec_lo, exec_lo, s0
	s_waitcnt lgkmcnt(0)
	v_mov_b32_e32 v2, v5
.LBB1_26:
	s_mov_b32 s0, exec_lo
	v_cmpx_gt_u32_e32 13, v0
	s_cbranch_execz .LBB1_30
; %bb.27:
	v_cmp_eq_f32_e64 s0, s2, 0
	s_waitcnt lgkmcnt(0)
	v_mul_f32_e32 v1, s10, v2
	s_delay_alu instid0(VALU_DEP_2)
	s_and_b32 vcc_lo, exec_lo, s0
	s_mov_b32 s0, 0
	s_cbranch_vccz .LBB1_31
; %bb.28:
	s_delay_alu instid0(VALU_DEP_1) | instskip(SKIP_1) | instid1(VALU_DEP_1)
	v_mad_u64_u32 v[2:3], null, s8, 13, v[0:1]
	v_mov_b32_e32 v3, 0
	v_lshlrev_b64 v[2:3], 2, v[2:3]
	s_delay_alu instid0(VALU_DEP_1) | instskip(NEXT) | instid1(VALU_DEP_2)
	v_add_co_u32 v2, vcc_lo, s12, v2
	v_add_co_ci_u32_e32 v3, vcc_lo, s13, v3, vcc_lo
	global_store_b32 v[2:3], v1, off
	s_and_not1_b32 vcc_lo, exec_lo, s0
	s_cbranch_vccnz .LBB1_30
.LBB1_29:
	v_mad_u64_u32 v[2:3], null, s8, 13, v[0:1]
	v_mov_b32_e32 v3, 0
	s_delay_alu instid0(VALU_DEP_1) | instskip(NEXT) | instid1(VALU_DEP_1)
	v_lshlrev_b64 v[2:3], 2, v[2:3]
	v_add_co_u32 v2, vcc_lo, s12, v2
	s_delay_alu instid0(VALU_DEP_2)
	v_add_co_ci_u32_e32 v3, vcc_lo, s13, v3, vcc_lo
	global_load_b32 v0, v[2:3], off
	s_waitcnt vmcnt(0)
	v_fmac_f32_e32 v1, s2, v0
	global_store_b32 v[2:3], v1, off
.LBB1_30:
	s_nop 0
	s_sendmsg sendmsg(MSG_DEALLOC_VGPRS)
	s_endpgm
.LBB1_31:
	s_branch .LBB1_29
	.section	.rodata,"a",@progbits
	.p2align	6, 0x0
	.amdhsa_kernel _ZN9rocsparseL22gebsrmvn_mxn_16_kernelILj52ELj13ELj2EfEEvi20rocsparse_direction_NS_24const_host_device_scalarIT2_EEPKiS6_PKS3_iiS8_S4_PS3_21rocsparse_index_base_b
		.amdhsa_group_segment_fixed_size 208
		.amdhsa_private_segment_fixed_size 0
		.amdhsa_kernarg_size 80
		.amdhsa_user_sgpr_count 15
		.amdhsa_user_sgpr_dispatch_ptr 0
		.amdhsa_user_sgpr_queue_ptr 0
		.amdhsa_user_sgpr_kernarg_segment_ptr 1
		.amdhsa_user_sgpr_dispatch_id 0
		.amdhsa_user_sgpr_private_segment_size 0
		.amdhsa_wavefront_size32 1
		.amdhsa_uses_dynamic_stack 0
		.amdhsa_enable_private_segment 0
		.amdhsa_system_sgpr_workgroup_id_x 1
		.amdhsa_system_sgpr_workgroup_id_y 0
		.amdhsa_system_sgpr_workgroup_id_z 0
		.amdhsa_system_sgpr_workgroup_info 0
		.amdhsa_system_vgpr_workitem_id 0
		.amdhsa_next_free_vgpr 11
		.amdhsa_next_free_sgpr 18
		.amdhsa_reserve_vcc 1
		.amdhsa_float_round_mode_32 0
		.amdhsa_float_round_mode_16_64 0
		.amdhsa_float_denorm_mode_32 3
		.amdhsa_float_denorm_mode_16_64 3
		.amdhsa_dx10_clamp 1
		.amdhsa_ieee_mode 1
		.amdhsa_fp16_overflow 0
		.amdhsa_workgroup_processor_mode 1
		.amdhsa_memory_ordered 1
		.amdhsa_forward_progress 0
		.amdhsa_shared_vgpr_count 0
		.amdhsa_exception_fp_ieee_invalid_op 0
		.amdhsa_exception_fp_denorm_src 0
		.amdhsa_exception_fp_ieee_div_zero 0
		.amdhsa_exception_fp_ieee_overflow 0
		.amdhsa_exception_fp_ieee_underflow 0
		.amdhsa_exception_fp_ieee_inexact 0
		.amdhsa_exception_int_div_zero 0
	.end_amdhsa_kernel
	.section	.text._ZN9rocsparseL22gebsrmvn_mxn_16_kernelILj52ELj13ELj2EfEEvi20rocsparse_direction_NS_24const_host_device_scalarIT2_EEPKiS6_PKS3_iiS8_S4_PS3_21rocsparse_index_base_b,"axG",@progbits,_ZN9rocsparseL22gebsrmvn_mxn_16_kernelILj52ELj13ELj2EfEEvi20rocsparse_direction_NS_24const_host_device_scalarIT2_EEPKiS6_PKS3_iiS8_S4_PS3_21rocsparse_index_base_b,comdat
.Lfunc_end1:
	.size	_ZN9rocsparseL22gebsrmvn_mxn_16_kernelILj52ELj13ELj2EfEEvi20rocsparse_direction_NS_24const_host_device_scalarIT2_EEPKiS6_PKS3_iiS8_S4_PS3_21rocsparse_index_base_b, .Lfunc_end1-_ZN9rocsparseL22gebsrmvn_mxn_16_kernelILj52ELj13ELj2EfEEvi20rocsparse_direction_NS_24const_host_device_scalarIT2_EEPKiS6_PKS3_iiS8_S4_PS3_21rocsparse_index_base_b
                                        ; -- End function
	.section	.AMDGPU.csdata,"",@progbits
; Kernel info:
; codeLenInByte = 992
; NumSgprs: 20
; NumVgprs: 11
; ScratchSize: 0
; MemoryBound: 0
; FloatMode: 240
; IeeeMode: 1
; LDSByteSize: 208 bytes/workgroup (compile time only)
; SGPRBlocks: 2
; VGPRBlocks: 1
; NumSGPRsForWavesPerEU: 20
; NumVGPRsForWavesPerEU: 11
; Occupancy: 16
; WaveLimiterHint : 1
; COMPUTE_PGM_RSRC2:SCRATCH_EN: 0
; COMPUTE_PGM_RSRC2:USER_SGPR: 15
; COMPUTE_PGM_RSRC2:TRAP_HANDLER: 0
; COMPUTE_PGM_RSRC2:TGID_X_EN: 1
; COMPUTE_PGM_RSRC2:TGID_Y_EN: 0
; COMPUTE_PGM_RSRC2:TGID_Z_EN: 0
; COMPUTE_PGM_RSRC2:TIDIG_COMP_CNT: 0
	.section	.text._ZN9rocsparseL22gebsrmvn_mxn_16_kernelILj39ELj13ELj3EfEEvi20rocsparse_direction_NS_24const_host_device_scalarIT2_EEPKiS6_PKS3_iiS8_S4_PS3_21rocsparse_index_base_b,"axG",@progbits,_ZN9rocsparseL22gebsrmvn_mxn_16_kernelILj39ELj13ELj3EfEEvi20rocsparse_direction_NS_24const_host_device_scalarIT2_EEPKiS6_PKS3_iiS8_S4_PS3_21rocsparse_index_base_b,comdat
	.globl	_ZN9rocsparseL22gebsrmvn_mxn_16_kernelILj39ELj13ELj3EfEEvi20rocsparse_direction_NS_24const_host_device_scalarIT2_EEPKiS6_PKS3_iiS8_S4_PS3_21rocsparse_index_base_b ; -- Begin function _ZN9rocsparseL22gebsrmvn_mxn_16_kernelILj39ELj13ELj3EfEEvi20rocsparse_direction_NS_24const_host_device_scalarIT2_EEPKiS6_PKS3_iiS8_S4_PS3_21rocsparse_index_base_b
	.p2align	8
	.type	_ZN9rocsparseL22gebsrmvn_mxn_16_kernelILj39ELj13ELj3EfEEvi20rocsparse_direction_NS_24const_host_device_scalarIT2_EEPKiS6_PKS3_iiS8_S4_PS3_21rocsparse_index_base_b,@function
_ZN9rocsparseL22gebsrmvn_mxn_16_kernelILj39ELj13ELj3EfEEvi20rocsparse_direction_NS_24const_host_device_scalarIT2_EEPKiS6_PKS3_iiS8_S4_PS3_21rocsparse_index_base_b: ; @_ZN9rocsparseL22gebsrmvn_mxn_16_kernelILj39ELj13ELj3EfEEvi20rocsparse_direction_NS_24const_host_device_scalarIT2_EEPKiS6_PKS3_iiS8_S4_PS3_21rocsparse_index_base_b
; %bb.0:
	s_mov_b32 s8, s15
	s_clause 0x2
	s_load_b64 s[14:15], s[0:1], 0x48
	s_load_b64 s[10:11], s[0:1], 0x8
	;; [unrolled: 1-line block ×3, first 2 shown]
	s_waitcnt lgkmcnt(0)
	s_bitcmp1_b32 s15, 0
	s_cselect_b32 s4, -1, 0
	s_delay_alu instid0(SALU_CYCLE_1)
	s_and_b32 vcc_lo, exec_lo, s4
	s_xor_b32 s4, s4, -1
	s_cbranch_vccnz .LBB2_2
; %bb.1:
	s_load_b32 s10, s[10:11], 0x0
.LBB2_2:
	s_and_not1_b32 vcc_lo, exec_lo, s4
	s_cbranch_vccnz .LBB2_4
; %bb.3:
	s_load_b32 s2, s[2:3], 0x0
.LBB2_4:
	s_waitcnt lgkmcnt(0)
	v_cmp_eq_f32_e64 s3, s10, 0
	v_cmp_eq_f32_e64 s4, s2, 1.0
	s_delay_alu instid0(VALU_DEP_1) | instskip(NEXT) | instid1(SALU_CYCLE_1)
	s_and_b32 s3, s3, s4
	s_and_b32 vcc_lo, exec_lo, s3
	s_cbranch_vccnz .LBB2_32
; %bb.5:
	v_mul_u32_u24_e32 v1, 0x5556, v0
	s_clause 0x1
	s_load_b32 s3, s[0:1], 0x4
	s_load_b64 s[4:5], s[0:1], 0x10
	s_delay_alu instid0(VALU_DEP_1) | instskip(NEXT) | instid1(VALU_DEP_1)
	v_lshrrev_b32_e32 v1, 16, v1
	v_mul_lo_u16 v1, v1, 3
	s_delay_alu instid0(VALU_DEP_1) | instskip(NEXT) | instid1(VALU_DEP_1)
	v_sub_nc_u16 v1, v0, v1
	v_and_b32_e32 v7, 0xffff, v1
	s_waitcnt lgkmcnt(0)
	s_cmp_lg_u32 s3, 1
	v_and_b32_e32 v2, 0xffff, v0
	s_cselect_b32 s3, -1, 0
	v_mov_b32_e32 v1, v7
	s_and_b32 vcc_lo, exec_lo, s3
	s_cbranch_vccnz .LBB2_7
; %bb.6:
	v_mul_u32_u24_e32 v1, 0x13b2, v2
	s_delay_alu instid0(VALU_DEP_1) | instskip(NEXT) | instid1(VALU_DEP_1)
	v_lshrrev_b32_e32 v1, 16, v1
	v_mul_lo_u16 v3, 0x56, v1
	s_delay_alu instid0(VALU_DEP_1) | instskip(NEXT) | instid1(VALU_DEP_1)
	v_lshrrev_b16 v3, 8, v3
	v_mul_lo_u16 v3, v3, 3
	s_delay_alu instid0(VALU_DEP_1) | instskip(NEXT) | instid1(VALU_DEP_1)
	v_sub_nc_u16 v1, v1, v3
	v_and_b32_e32 v1, 0xff, v1
.LBB2_7:
	s_ashr_i32 s9, s8, 31
	v_mov_b32_e32 v6, 0
	s_lshl_b64 s[6:7], s[8:9], 2
	s_delay_alu instid0(SALU_CYCLE_1)
	s_add_u32 s4, s4, s6
	s_addc_u32 s5, s5, s7
	s_load_b64 s[16:17], s[4:5], 0x0
	s_load_b64 s[12:13], s[0:1], 0x40
	s_waitcnt lgkmcnt(0)
	s_cmp_ge_i32 s16, s17
	s_cbranch_scc1 .LBB2_12
; %bb.8:
	s_clause 0x1
	s_load_b128 s[4:7], s[0:1], 0x18
	s_load_b64 s[0:1], s[0:1], 0x30
	v_mad_u64_u32 v[4:5], null, s16, 39, v[0:1]
	v_mul_u32_u24_e32 v2, 0x691, v2
	v_mov_b32_e32 v3, 0
	s_mul_i32 s9, s14, 39
	s_sub_i32 s11, s16, s14
	s_delay_alu instid0(VALU_DEP_2) | instskip(NEXT) | instid1(VALU_DEP_4)
	v_lshrrev_b32_e32 v8, 16, v2
	v_subrev_nc_u32_e32 v2, s9, v4
	v_mov_b32_e32 v6, v3
	s_sub_i32 s9, s17, s14
	s_set_inst_prefetch_distance 0x1
	s_branch .LBB2_10
	.p2align	6
.LBB2_9:                                ;   in Loop: Header=BB2_10 Depth=1
	s_or_b32 exec_lo, exec_lo, s15
	v_add_nc_u32_e32 v2, 39, v2
	s_add_i32 s11, s11, 1
	s_delay_alu instid0(SALU_CYCLE_1)
	s_cmp_ge_i32 s11, s9
	s_cbranch_scc1 .LBB2_12
.LBB2_10:                               ; =>This Inner Loop Header: Depth=1
	v_add_nc_u32_e32 v4, s11, v8
	s_mov_b32 s15, exec_lo
	s_delay_alu instid0(VALU_DEP_1)
	v_cmpx_gt_i32_e64 s9, v4
	s_cbranch_execz .LBB2_9
; %bb.11:                               ;   in Loop: Header=BB2_10 Depth=1
	v_ashrrev_i32_e32 v5, 31, v4
	s_delay_alu instid0(VALU_DEP_1) | instskip(SKIP_1) | instid1(VALU_DEP_1)
	v_lshlrev_b64 v[4:5], 2, v[4:5]
	s_waitcnt lgkmcnt(0)
	v_add_co_u32 v4, vcc_lo, s4, v4
	s_delay_alu instid0(VALU_DEP_2) | instskip(SKIP_3) | instid1(VALU_DEP_1)
	v_add_co_ci_u32_e32 v5, vcc_lo, s5, v5, vcc_lo
	global_load_b32 v4, v[4:5], off
	s_waitcnt vmcnt(0)
	v_subrev_nc_u32_e32 v9, s14, v4
	v_mad_u64_u32 v[4:5], null, v9, 3, v[1:2]
	v_lshlrev_b64 v[9:10], 2, v[2:3]
	s_delay_alu instid0(VALU_DEP_1) | instskip(NEXT) | instid1(VALU_DEP_3)
	v_add_co_u32 v9, vcc_lo, s6, v9
	v_ashrrev_i32_e32 v5, 31, v4
	s_delay_alu instid0(VALU_DEP_3) | instskip(NEXT) | instid1(VALU_DEP_2)
	v_add_co_ci_u32_e32 v10, vcc_lo, s7, v10, vcc_lo
	v_lshlrev_b64 v[4:5], 2, v[4:5]
	s_delay_alu instid0(VALU_DEP_1) | instskip(NEXT) | instid1(VALU_DEP_2)
	v_add_co_u32 v4, vcc_lo, s0, v4
	v_add_co_ci_u32_e32 v5, vcc_lo, s1, v5, vcc_lo
	global_load_b32 v9, v[9:10], off
	global_load_b32 v4, v[4:5], off
	s_waitcnt vmcnt(0)
	v_fmac_f32_e32 v6, v9, v4
	s_branch .LBB2_9
.LBB2_12:
	s_set_inst_prefetch_distance 0x2
	v_lshlrev_b32_e32 v1, 2, v0
	s_and_b32 vcc_lo, exec_lo, s3
	ds_store_b32 v1, v6
	s_waitcnt lgkmcnt(0)
	s_barrier
	buffer_gl0_inv
	s_cbranch_vccz .LBB2_20
; %bb.13:
	v_cmp_eq_u16_e32 vcc_lo, 0, v7
	s_and_saveexec_b32 s0, vcc_lo
	s_cbranch_execz .LBB2_15
; %bb.14:
	ds_load_2addr_b32 v[2:3], v1 offset1:2
	s_waitcnt lgkmcnt(0)
	v_add_f32_e32 v2, v3, v2
	ds_store_b32 v1, v2
.LBB2_15:
	s_or_b32 exec_lo, exec_lo, s0
	s_waitcnt lgkmcnt(0)
	s_barrier
	buffer_gl0_inv
	s_and_saveexec_b32 s0, vcc_lo
	s_cbranch_execz .LBB2_17
; %bb.16:
	ds_load_2addr_b32 v[2:3], v1 offset1:1
	s_waitcnt lgkmcnt(0)
	v_add_f32_e32 v2, v3, v2
	ds_store_b32 v1, v2
.LBB2_17:
	s_or_b32 exec_lo, exec_lo, s0
	v_mov_b32_e32 v2, v6
	s_mov_b32 s0, exec_lo
	s_waitcnt lgkmcnt(0)
	s_barrier
	buffer_gl0_inv
	v_cmpx_gt_u32_e32 13, v0
	s_cbranch_execz .LBB2_19
; %bb.18:
	v_lshl_add_u32 v2, v0, 3, v1
	ds_load_b32 v2, v2
.LBB2_19:
	s_or_b32 exec_lo, exec_lo, s0
	v_cmp_gt_u32_e64 s0, 13, v0
	s_branch .LBB2_28
.LBB2_20:
                                        ; implicit-def: $vgpr2
	v_cmp_gt_u32_e64 s0, 13, v0
	s_cbranch_execz .LBB2_28
; %bb.21:
	v_cmp_lt_u32_e32 vcc_lo, 12, v0
	s_delay_alu instid0(VALU_DEP_2)
	s_and_saveexec_b32 s1, s0
	s_cbranch_execz .LBB2_23
; %bb.22:
	s_waitcnt lgkmcnt(0)
	ds_load_2addr_b32 v[2:3], v1 offset1:26
	s_waitcnt lgkmcnt(0)
	v_add_f32_e32 v2, v3, v2
	ds_store_b32 v1, v2
.LBB2_23:
	s_or_b32 exec_lo, exec_lo, s1
	s_waitcnt lgkmcnt(0)
	s_barrier
	buffer_gl0_inv
	s_and_saveexec_b32 s0, vcc_lo
	s_delay_alu instid0(SALU_CYCLE_1)
	s_xor_b32 s0, exec_lo, s0
	s_cbranch_execz .LBB2_25
; %bb.24:
	buffer_gl0_inv
                                        ; implicit-def: $vgpr1
.LBB2_25:
	s_and_not1_saveexec_b32 s0, s0
	s_cbranch_execz .LBB2_27
; %bb.26:
	ds_load_2addr_b32 v[2:3], v1 offset1:13
	s_waitcnt lgkmcnt(0)
	v_add_f32_e32 v2, v3, v2
	ds_store_b32 v1, v2
	s_waitcnt lgkmcnt(0)
	buffer_gl0_inv
	ds_load_b32 v6, v1
.LBB2_27:
	s_or_b32 exec_lo, exec_lo, s0
	s_waitcnt lgkmcnt(0)
	v_mov_b32_e32 v2, v6
.LBB2_28:
	s_mov_b32 s0, exec_lo
	v_cmpx_gt_u32_e32 13, v0
	s_cbranch_execz .LBB2_32
; %bb.29:
	v_cmp_eq_f32_e64 s0, s2, 0
	s_waitcnt lgkmcnt(0)
	v_mul_f32_e32 v1, s10, v2
	s_delay_alu instid0(VALU_DEP_2)
	s_and_b32 vcc_lo, exec_lo, s0
	s_mov_b32 s0, 0
	s_cbranch_vccz .LBB2_33
; %bb.30:
	s_delay_alu instid0(VALU_DEP_1) | instskip(SKIP_1) | instid1(VALU_DEP_1)
	v_mad_u64_u32 v[2:3], null, s8, 13, v[0:1]
	v_mov_b32_e32 v3, 0
	v_lshlrev_b64 v[2:3], 2, v[2:3]
	s_delay_alu instid0(VALU_DEP_1) | instskip(NEXT) | instid1(VALU_DEP_2)
	v_add_co_u32 v2, vcc_lo, s12, v2
	v_add_co_ci_u32_e32 v3, vcc_lo, s13, v3, vcc_lo
	global_store_b32 v[2:3], v1, off
	s_and_not1_b32 vcc_lo, exec_lo, s0
	s_cbranch_vccnz .LBB2_32
.LBB2_31:
	v_mad_u64_u32 v[2:3], null, s8, 13, v[0:1]
	v_mov_b32_e32 v3, 0
	s_delay_alu instid0(VALU_DEP_1) | instskip(NEXT) | instid1(VALU_DEP_1)
	v_lshlrev_b64 v[2:3], 2, v[2:3]
	v_add_co_u32 v2, vcc_lo, s12, v2
	s_delay_alu instid0(VALU_DEP_2)
	v_add_co_ci_u32_e32 v3, vcc_lo, s13, v3, vcc_lo
	global_load_b32 v0, v[2:3], off
	s_waitcnt vmcnt(0)
	v_fmac_f32_e32 v1, s2, v0
	global_store_b32 v[2:3], v1, off
.LBB2_32:
	s_nop 0
	s_sendmsg sendmsg(MSG_DEALLOC_VGPRS)
	s_endpgm
.LBB2_33:
	s_branch .LBB2_31
	.section	.rodata,"a",@progbits
	.p2align	6, 0x0
	.amdhsa_kernel _ZN9rocsparseL22gebsrmvn_mxn_16_kernelILj39ELj13ELj3EfEEvi20rocsparse_direction_NS_24const_host_device_scalarIT2_EEPKiS6_PKS3_iiS8_S4_PS3_21rocsparse_index_base_b
		.amdhsa_group_segment_fixed_size 156
		.amdhsa_private_segment_fixed_size 0
		.amdhsa_kernarg_size 80
		.amdhsa_user_sgpr_count 15
		.amdhsa_user_sgpr_dispatch_ptr 0
		.amdhsa_user_sgpr_queue_ptr 0
		.amdhsa_user_sgpr_kernarg_segment_ptr 1
		.amdhsa_user_sgpr_dispatch_id 0
		.amdhsa_user_sgpr_private_segment_size 0
		.amdhsa_wavefront_size32 1
		.amdhsa_uses_dynamic_stack 0
		.amdhsa_enable_private_segment 0
		.amdhsa_system_sgpr_workgroup_id_x 1
		.amdhsa_system_sgpr_workgroup_id_y 0
		.amdhsa_system_sgpr_workgroup_id_z 0
		.amdhsa_system_sgpr_workgroup_info 0
		.amdhsa_system_vgpr_workitem_id 0
		.amdhsa_next_free_vgpr 11
		.amdhsa_next_free_sgpr 18
		.amdhsa_reserve_vcc 1
		.amdhsa_float_round_mode_32 0
		.amdhsa_float_round_mode_16_64 0
		.amdhsa_float_denorm_mode_32 3
		.amdhsa_float_denorm_mode_16_64 3
		.amdhsa_dx10_clamp 1
		.amdhsa_ieee_mode 1
		.amdhsa_fp16_overflow 0
		.amdhsa_workgroup_processor_mode 1
		.amdhsa_memory_ordered 1
		.amdhsa_forward_progress 0
		.amdhsa_shared_vgpr_count 0
		.amdhsa_exception_fp_ieee_invalid_op 0
		.amdhsa_exception_fp_denorm_src 0
		.amdhsa_exception_fp_ieee_div_zero 0
		.amdhsa_exception_fp_ieee_overflow 0
		.amdhsa_exception_fp_ieee_underflow 0
		.amdhsa_exception_fp_ieee_inexact 0
		.amdhsa_exception_int_div_zero 0
	.end_amdhsa_kernel
	.section	.text._ZN9rocsparseL22gebsrmvn_mxn_16_kernelILj39ELj13ELj3EfEEvi20rocsparse_direction_NS_24const_host_device_scalarIT2_EEPKiS6_PKS3_iiS8_S4_PS3_21rocsparse_index_base_b,"axG",@progbits,_ZN9rocsparseL22gebsrmvn_mxn_16_kernelILj39ELj13ELj3EfEEvi20rocsparse_direction_NS_24const_host_device_scalarIT2_EEPKiS6_PKS3_iiS8_S4_PS3_21rocsparse_index_base_b,comdat
.Lfunc_end2:
	.size	_ZN9rocsparseL22gebsrmvn_mxn_16_kernelILj39ELj13ELj3EfEEvi20rocsparse_direction_NS_24const_host_device_scalarIT2_EEPKiS6_PKS3_iiS8_S4_PS3_21rocsparse_index_base_b, .Lfunc_end2-_ZN9rocsparseL22gebsrmvn_mxn_16_kernelILj39ELj13ELj3EfEEvi20rocsparse_direction_NS_24const_host_device_scalarIT2_EEPKiS6_PKS3_iiS8_S4_PS3_21rocsparse_index_base_b
                                        ; -- End function
	.section	.AMDGPU.csdata,"",@progbits
; Kernel info:
; codeLenInByte = 1144
; NumSgprs: 20
; NumVgprs: 11
; ScratchSize: 0
; MemoryBound: 0
; FloatMode: 240
; IeeeMode: 1
; LDSByteSize: 156 bytes/workgroup (compile time only)
; SGPRBlocks: 2
; VGPRBlocks: 1
; NumSGPRsForWavesPerEU: 20
; NumVGPRsForWavesPerEU: 11
; Occupancy: 16
; WaveLimiterHint : 1
; COMPUTE_PGM_RSRC2:SCRATCH_EN: 0
; COMPUTE_PGM_RSRC2:USER_SGPR: 15
; COMPUTE_PGM_RSRC2:TRAP_HANDLER: 0
; COMPUTE_PGM_RSRC2:TGID_X_EN: 1
; COMPUTE_PGM_RSRC2:TGID_Y_EN: 0
; COMPUTE_PGM_RSRC2:TGID_Z_EN: 0
; COMPUTE_PGM_RSRC2:TIDIG_COMP_CNT: 0
	.section	.text._ZN9rocsparseL22gebsrmvn_mxn_16_kernelILj52ELj13ELj4EfEEvi20rocsparse_direction_NS_24const_host_device_scalarIT2_EEPKiS6_PKS3_iiS8_S4_PS3_21rocsparse_index_base_b,"axG",@progbits,_ZN9rocsparseL22gebsrmvn_mxn_16_kernelILj52ELj13ELj4EfEEvi20rocsparse_direction_NS_24const_host_device_scalarIT2_EEPKiS6_PKS3_iiS8_S4_PS3_21rocsparse_index_base_b,comdat
	.globl	_ZN9rocsparseL22gebsrmvn_mxn_16_kernelILj52ELj13ELj4EfEEvi20rocsparse_direction_NS_24const_host_device_scalarIT2_EEPKiS6_PKS3_iiS8_S4_PS3_21rocsparse_index_base_b ; -- Begin function _ZN9rocsparseL22gebsrmvn_mxn_16_kernelILj52ELj13ELj4EfEEvi20rocsparse_direction_NS_24const_host_device_scalarIT2_EEPKiS6_PKS3_iiS8_S4_PS3_21rocsparse_index_base_b
	.p2align	8
	.type	_ZN9rocsparseL22gebsrmvn_mxn_16_kernelILj52ELj13ELj4EfEEvi20rocsparse_direction_NS_24const_host_device_scalarIT2_EEPKiS6_PKS3_iiS8_S4_PS3_21rocsparse_index_base_b,@function
_ZN9rocsparseL22gebsrmvn_mxn_16_kernelILj52ELj13ELj4EfEEvi20rocsparse_direction_NS_24const_host_device_scalarIT2_EEPKiS6_PKS3_iiS8_S4_PS3_21rocsparse_index_base_b: ; @_ZN9rocsparseL22gebsrmvn_mxn_16_kernelILj52ELj13ELj4EfEEvi20rocsparse_direction_NS_24const_host_device_scalarIT2_EEPKiS6_PKS3_iiS8_S4_PS3_21rocsparse_index_base_b
; %bb.0:
	s_mov_b32 s8, s15
	s_clause 0x2
	s_load_b64 s[14:15], s[0:1], 0x48
	s_load_b64 s[10:11], s[0:1], 0x8
	;; [unrolled: 1-line block ×3, first 2 shown]
	s_waitcnt lgkmcnt(0)
	s_bitcmp1_b32 s15, 0
	s_cselect_b32 s4, -1, 0
	s_delay_alu instid0(SALU_CYCLE_1)
	s_and_b32 vcc_lo, exec_lo, s4
	s_xor_b32 s4, s4, -1
	s_cbranch_vccnz .LBB3_2
; %bb.1:
	s_load_b32 s10, s[10:11], 0x0
.LBB3_2:
	s_and_not1_b32 vcc_lo, exec_lo, s4
	s_cbranch_vccnz .LBB3_4
; %bb.3:
	s_load_b32 s2, s[2:3], 0x0
.LBB3_4:
	s_waitcnt lgkmcnt(0)
	v_cmp_eq_f32_e64 s3, s10, 0
	v_cmp_eq_f32_e64 s4, s2, 1.0
	s_delay_alu instid0(VALU_DEP_1) | instskip(NEXT) | instid1(SALU_CYCLE_1)
	s_and_b32 s3, s3, s4
	s_and_b32 vcc_lo, exec_lo, s3
	s_cbranch_vccnz .LBB3_32
; %bb.5:
	s_clause 0x1
	s_load_b32 s3, s[0:1], 0x4
	s_load_b64 s[4:5], s[0:1], 0x10
	v_and_b32_e32 v6, 3, v0
	s_delay_alu instid0(VALU_DEP_1) | instskip(SKIP_3) | instid1(SALU_CYCLE_1)
	v_mov_b32_e32 v7, v6
	s_waitcnt lgkmcnt(0)
	s_cmp_lg_u32 s3, 1
	s_cselect_b32 s3, -1, 0
	s_and_b32 vcc_lo, exec_lo, s3
	s_cbranch_vccnz .LBB3_7
; %bb.6:
	v_mul_u32_u24_e32 v1, 0x13b2, v0
	s_delay_alu instid0(VALU_DEP_1)
	v_bfe_u32 v7, v1, 16, 2
.LBB3_7:
	s_ashr_i32 s9, s8, 31
	v_mov_b32_e32 v5, 0
	s_lshl_b64 s[6:7], s[8:9], 2
	s_delay_alu instid0(SALU_CYCLE_1)
	s_add_u32 s4, s4, s6
	s_addc_u32 s5, s5, s7
	s_load_b64 s[16:17], s[4:5], 0x0
	s_load_b64 s[12:13], s[0:1], 0x40
	s_waitcnt lgkmcnt(0)
	s_cmp_ge_i32 s16, s17
	s_cbranch_scc1 .LBB3_12
; %bb.8:
	s_clause 0x1
	s_load_b128 s[4:7], s[0:1], 0x18
	s_load_b64 s[0:1], s[0:1], 0x30
	v_mad_u64_u32 v[1:2], null, s16, 52, v[0:1]
	v_mul_u32_u24_e32 v3, 0x4ed, v0
	v_mov_b32_e32 v2, 0
	s_mul_i32 s9, s14, 52
	s_sub_i32 s11, s16, s14
	s_delay_alu instid0(VALU_DEP_2) | instskip(NEXT) | instid1(VALU_DEP_4)
	v_lshrrev_b32_e32 v8, 16, v3
	v_subrev_nc_u32_e32 v1, s9, v1
	v_mov_b32_e32 v5, v2
	s_sub_i32 s9, s17, s14
	s_set_inst_prefetch_distance 0x1
	s_branch .LBB3_10
	.p2align	6
.LBB3_9:                                ;   in Loop: Header=BB3_10 Depth=1
	s_or_b32 exec_lo, exec_lo, s15
	v_add_nc_u32_e32 v1, 52, v1
	s_add_i32 s11, s11, 1
	s_delay_alu instid0(SALU_CYCLE_1)
	s_cmp_ge_i32 s11, s9
	s_cbranch_scc1 .LBB3_12
.LBB3_10:                               ; =>This Inner Loop Header: Depth=1
	v_add_nc_u32_e32 v3, s11, v8
	s_mov_b32 s15, exec_lo
	s_delay_alu instid0(VALU_DEP_1)
	v_cmpx_gt_i32_e64 s9, v3
	s_cbranch_execz .LBB3_9
; %bb.11:                               ;   in Loop: Header=BB3_10 Depth=1
	v_ashrrev_i32_e32 v4, 31, v3
	v_lshlrev_b64 v[9:10], 2, v[1:2]
	s_delay_alu instid0(VALU_DEP_2) | instskip(SKIP_1) | instid1(VALU_DEP_1)
	v_lshlrev_b64 v[3:4], 2, v[3:4]
	s_waitcnt lgkmcnt(0)
	v_add_co_u32 v3, vcc_lo, s4, v3
	s_delay_alu instid0(VALU_DEP_2) | instskip(NEXT) | instid1(VALU_DEP_4)
	v_add_co_ci_u32_e32 v4, vcc_lo, s5, v4, vcc_lo
	v_add_co_u32 v9, vcc_lo, s6, v9
	v_add_co_ci_u32_e32 v10, vcc_lo, s7, v10, vcc_lo
	global_load_b32 v3, v[3:4], off
	s_waitcnt vmcnt(0)
	v_subrev_nc_u32_e32 v3, s14, v3
	s_delay_alu instid0(VALU_DEP_1) | instskip(NEXT) | instid1(VALU_DEP_1)
	v_lshl_or_b32 v3, v3, 2, v7
	v_ashrrev_i32_e32 v4, 31, v3
	s_delay_alu instid0(VALU_DEP_1) | instskip(NEXT) | instid1(VALU_DEP_1)
	v_lshlrev_b64 v[3:4], 2, v[3:4]
	v_add_co_u32 v3, vcc_lo, s0, v3
	s_delay_alu instid0(VALU_DEP_2)
	v_add_co_ci_u32_e32 v4, vcc_lo, s1, v4, vcc_lo
	global_load_b32 v9, v[9:10], off
	global_load_b32 v3, v[3:4], off
	s_waitcnt vmcnt(0)
	v_fmac_f32_e32 v5, v9, v3
	s_branch .LBB3_9
.LBB3_12:
	s_set_inst_prefetch_distance 0x2
	v_lshlrev_b32_e32 v1, 2, v0
	s_and_b32 vcc_lo, exec_lo, s3
	ds_store_b32 v1, v5
	s_waitcnt lgkmcnt(0)
	s_barrier
	buffer_gl0_inv
	s_cbranch_vccz .LBB3_20
; %bb.13:
	s_mov_b32 s0, exec_lo
	v_cmpx_gt_u32_e32 2, v6
	s_cbranch_execz .LBB3_15
; %bb.14:
	ds_load_2addr_b32 v[2:3], v1 offset1:2
	s_waitcnt lgkmcnt(0)
	v_add_f32_e32 v2, v3, v2
	ds_store_b32 v1, v2
.LBB3_15:
	s_or_b32 exec_lo, exec_lo, s0
	s_delay_alu instid0(SALU_CYCLE_1)
	s_mov_b32 s0, exec_lo
	s_waitcnt lgkmcnt(0)
	s_barrier
	buffer_gl0_inv
	v_cmpx_eq_u32_e32 0, v6
	s_cbranch_execz .LBB3_17
; %bb.16:
	ds_load_2addr_b32 v[2:3], v1 offset1:1
	s_waitcnt lgkmcnt(0)
	v_add_f32_e32 v2, v3, v2
	ds_store_b32 v1, v2
.LBB3_17:
	s_or_b32 exec_lo, exec_lo, s0
	v_mov_b32_e32 v2, v5
	s_mov_b32 s0, exec_lo
	s_waitcnt lgkmcnt(0)
	s_barrier
	buffer_gl0_inv
	v_cmpx_gt_u32_e32 13, v0
	s_cbranch_execz .LBB3_19
; %bb.18:
	v_mad_u32_u24 v2, v0, 12, v1
	ds_load_b32 v2, v2
.LBB3_19:
	s_or_b32 exec_lo, exec_lo, s0
	s_branch .LBB3_28
.LBB3_20:
                                        ; implicit-def: $vgpr2
	s_cbranch_execz .LBB3_28
; %bb.21:
	s_mov_b32 s0, exec_lo
	v_cmpx_gt_u32_e32 26, v0
	s_cbranch_execz .LBB3_23
; %bb.22:
	s_waitcnt lgkmcnt(0)
	ds_load_2addr_b32 v[2:3], v1 offset1:26
	s_waitcnt lgkmcnt(0)
	v_add_f32_e32 v2, v3, v2
	ds_store_b32 v1, v2
.LBB3_23:
	s_or_b32 exec_lo, exec_lo, s0
	s_delay_alu instid0(SALU_CYCLE_1)
	s_mov_b32 s0, exec_lo
	s_waitcnt lgkmcnt(0)
	buffer_gl0_inv
	v_cmpx_lt_u32_e32 12, v0
	s_xor_b32 s0, exec_lo, s0
	s_cbranch_execz .LBB3_25
; %bb.24:
	buffer_gl0_inv
                                        ; implicit-def: $vgpr1
.LBB3_25:
	s_and_not1_saveexec_b32 s0, s0
	s_cbranch_execz .LBB3_27
; %bb.26:
	ds_load_2addr_b32 v[2:3], v1 offset1:13
	s_waitcnt lgkmcnt(0)
	v_add_f32_e32 v2, v3, v2
	ds_store_b32 v1, v2
	s_waitcnt lgkmcnt(0)
	buffer_gl0_inv
	ds_load_b32 v5, v1
.LBB3_27:
	s_or_b32 exec_lo, exec_lo, s0
	s_waitcnt lgkmcnt(0)
	v_mov_b32_e32 v2, v5
.LBB3_28:
	s_mov_b32 s0, exec_lo
	v_cmpx_gt_u32_e32 13, v0
	s_cbranch_execz .LBB3_32
; %bb.29:
	v_cmp_eq_f32_e64 s0, s2, 0
	s_waitcnt lgkmcnt(0)
	v_mul_f32_e32 v1, s10, v2
	s_delay_alu instid0(VALU_DEP_2)
	s_and_b32 vcc_lo, exec_lo, s0
	s_mov_b32 s0, 0
	s_cbranch_vccz .LBB3_33
; %bb.30:
	s_delay_alu instid0(VALU_DEP_1) | instskip(SKIP_1) | instid1(VALU_DEP_1)
	v_mad_u64_u32 v[2:3], null, s8, 13, v[0:1]
	v_mov_b32_e32 v3, 0
	v_lshlrev_b64 v[2:3], 2, v[2:3]
	s_delay_alu instid0(VALU_DEP_1) | instskip(NEXT) | instid1(VALU_DEP_2)
	v_add_co_u32 v2, vcc_lo, s12, v2
	v_add_co_ci_u32_e32 v3, vcc_lo, s13, v3, vcc_lo
	global_store_b32 v[2:3], v1, off
	s_and_not1_b32 vcc_lo, exec_lo, s0
	s_cbranch_vccnz .LBB3_32
.LBB3_31:
	v_mad_u64_u32 v[2:3], null, s8, 13, v[0:1]
	v_mov_b32_e32 v3, 0
	s_delay_alu instid0(VALU_DEP_1) | instskip(NEXT) | instid1(VALU_DEP_1)
	v_lshlrev_b64 v[2:3], 2, v[2:3]
	v_add_co_u32 v2, vcc_lo, s12, v2
	s_delay_alu instid0(VALU_DEP_2)
	v_add_co_ci_u32_e32 v3, vcc_lo, s13, v3, vcc_lo
	global_load_b32 v0, v[2:3], off
	s_waitcnt vmcnt(0)
	v_fmac_f32_e32 v1, s2, v0
	global_store_b32 v[2:3], v1, off
.LBB3_32:
	s_nop 0
	s_sendmsg sendmsg(MSG_DEALLOC_VGPRS)
	s_endpgm
.LBB3_33:
	s_branch .LBB3_31
	.section	.rodata,"a",@progbits
	.p2align	6, 0x0
	.amdhsa_kernel _ZN9rocsparseL22gebsrmvn_mxn_16_kernelILj52ELj13ELj4EfEEvi20rocsparse_direction_NS_24const_host_device_scalarIT2_EEPKiS6_PKS3_iiS8_S4_PS3_21rocsparse_index_base_b
		.amdhsa_group_segment_fixed_size 208
		.amdhsa_private_segment_fixed_size 0
		.amdhsa_kernarg_size 80
		.amdhsa_user_sgpr_count 15
		.amdhsa_user_sgpr_dispatch_ptr 0
		.amdhsa_user_sgpr_queue_ptr 0
		.amdhsa_user_sgpr_kernarg_segment_ptr 1
		.amdhsa_user_sgpr_dispatch_id 0
		.amdhsa_user_sgpr_private_segment_size 0
		.amdhsa_wavefront_size32 1
		.amdhsa_uses_dynamic_stack 0
		.amdhsa_enable_private_segment 0
		.amdhsa_system_sgpr_workgroup_id_x 1
		.amdhsa_system_sgpr_workgroup_id_y 0
		.amdhsa_system_sgpr_workgroup_id_z 0
		.amdhsa_system_sgpr_workgroup_info 0
		.amdhsa_system_vgpr_workitem_id 0
		.amdhsa_next_free_vgpr 11
		.amdhsa_next_free_sgpr 18
		.amdhsa_reserve_vcc 1
		.amdhsa_float_round_mode_32 0
		.amdhsa_float_round_mode_16_64 0
		.amdhsa_float_denorm_mode_32 3
		.amdhsa_float_denorm_mode_16_64 3
		.amdhsa_dx10_clamp 1
		.amdhsa_ieee_mode 1
		.amdhsa_fp16_overflow 0
		.amdhsa_workgroup_processor_mode 1
		.amdhsa_memory_ordered 1
		.amdhsa_forward_progress 0
		.amdhsa_shared_vgpr_count 0
		.amdhsa_exception_fp_ieee_invalid_op 0
		.amdhsa_exception_fp_denorm_src 0
		.amdhsa_exception_fp_ieee_div_zero 0
		.amdhsa_exception_fp_ieee_overflow 0
		.amdhsa_exception_fp_ieee_underflow 0
		.amdhsa_exception_fp_ieee_inexact 0
		.amdhsa_exception_int_div_zero 0
	.end_amdhsa_kernel
	.section	.text._ZN9rocsparseL22gebsrmvn_mxn_16_kernelILj52ELj13ELj4EfEEvi20rocsparse_direction_NS_24const_host_device_scalarIT2_EEPKiS6_PKS3_iiS8_S4_PS3_21rocsparse_index_base_b,"axG",@progbits,_ZN9rocsparseL22gebsrmvn_mxn_16_kernelILj52ELj13ELj4EfEEvi20rocsparse_direction_NS_24const_host_device_scalarIT2_EEPKiS6_PKS3_iiS8_S4_PS3_21rocsparse_index_base_b,comdat
.Lfunc_end3:
	.size	_ZN9rocsparseL22gebsrmvn_mxn_16_kernelILj52ELj13ELj4EfEEvi20rocsparse_direction_NS_24const_host_device_scalarIT2_EEPKiS6_PKS3_iiS8_S4_PS3_21rocsparse_index_base_b, .Lfunc_end3-_ZN9rocsparseL22gebsrmvn_mxn_16_kernelILj52ELj13ELj4EfEEvi20rocsparse_direction_NS_24const_host_device_scalarIT2_EEPKiS6_PKS3_iiS8_S4_PS3_21rocsparse_index_base_b
                                        ; -- End function
	.section	.AMDGPU.csdata,"",@progbits
; Kernel info:
; codeLenInByte = 1040
; NumSgprs: 20
; NumVgprs: 11
; ScratchSize: 0
; MemoryBound: 0
; FloatMode: 240
; IeeeMode: 1
; LDSByteSize: 208 bytes/workgroup (compile time only)
; SGPRBlocks: 2
; VGPRBlocks: 1
; NumSGPRsForWavesPerEU: 20
; NumVGPRsForWavesPerEU: 11
; Occupancy: 16
; WaveLimiterHint : 1
; COMPUTE_PGM_RSRC2:SCRATCH_EN: 0
; COMPUTE_PGM_RSRC2:USER_SGPR: 15
; COMPUTE_PGM_RSRC2:TRAP_HANDLER: 0
; COMPUTE_PGM_RSRC2:TGID_X_EN: 1
; COMPUTE_PGM_RSRC2:TGID_Y_EN: 0
; COMPUTE_PGM_RSRC2:TGID_Z_EN: 0
; COMPUTE_PGM_RSRC2:TIDIG_COMP_CNT: 0
	.section	.text._ZN9rocsparseL22gebsrmvn_mxn_16_kernelILj65ELj13ELj5EfEEvi20rocsparse_direction_NS_24const_host_device_scalarIT2_EEPKiS6_PKS3_iiS8_S4_PS3_21rocsparse_index_base_b,"axG",@progbits,_ZN9rocsparseL22gebsrmvn_mxn_16_kernelILj65ELj13ELj5EfEEvi20rocsparse_direction_NS_24const_host_device_scalarIT2_EEPKiS6_PKS3_iiS8_S4_PS3_21rocsparse_index_base_b,comdat
	.globl	_ZN9rocsparseL22gebsrmvn_mxn_16_kernelILj65ELj13ELj5EfEEvi20rocsparse_direction_NS_24const_host_device_scalarIT2_EEPKiS6_PKS3_iiS8_S4_PS3_21rocsparse_index_base_b ; -- Begin function _ZN9rocsparseL22gebsrmvn_mxn_16_kernelILj65ELj13ELj5EfEEvi20rocsparse_direction_NS_24const_host_device_scalarIT2_EEPKiS6_PKS3_iiS8_S4_PS3_21rocsparse_index_base_b
	.p2align	8
	.type	_ZN9rocsparseL22gebsrmvn_mxn_16_kernelILj65ELj13ELj5EfEEvi20rocsparse_direction_NS_24const_host_device_scalarIT2_EEPKiS6_PKS3_iiS8_S4_PS3_21rocsparse_index_base_b,@function
_ZN9rocsparseL22gebsrmvn_mxn_16_kernelILj65ELj13ELj5EfEEvi20rocsparse_direction_NS_24const_host_device_scalarIT2_EEPKiS6_PKS3_iiS8_S4_PS3_21rocsparse_index_base_b: ; @_ZN9rocsparseL22gebsrmvn_mxn_16_kernelILj65ELj13ELj5EfEEvi20rocsparse_direction_NS_24const_host_device_scalarIT2_EEPKiS6_PKS3_iiS8_S4_PS3_21rocsparse_index_base_b
; %bb.0:
	s_mov_b32 s8, s15
	s_clause 0x2
	s_load_b64 s[14:15], s[0:1], 0x48
	s_load_b64 s[10:11], s[0:1], 0x8
	;; [unrolled: 1-line block ×3, first 2 shown]
	s_waitcnt lgkmcnt(0)
	s_bitcmp1_b32 s15, 0
	s_cselect_b32 s4, -1, 0
	s_delay_alu instid0(SALU_CYCLE_1)
	s_and_b32 vcc_lo, exec_lo, s4
	s_xor_b32 s4, s4, -1
	s_cbranch_vccnz .LBB4_2
; %bb.1:
	s_load_b32 s10, s[10:11], 0x0
.LBB4_2:
	s_and_not1_b32 vcc_lo, exec_lo, s4
	s_cbranch_vccnz .LBB4_4
; %bb.3:
	s_load_b32 s2, s[2:3], 0x0
.LBB4_4:
	s_waitcnt lgkmcnt(0)
	v_cmp_eq_f32_e64 s3, s10, 0
	v_cmp_eq_f32_e64 s4, s2, 1.0
	s_delay_alu instid0(VALU_DEP_1) | instskip(NEXT) | instid1(SALU_CYCLE_1)
	s_and_b32 s3, s3, s4
	s_and_b32 vcc_lo, exec_lo, s3
	s_cbranch_vccnz .LBB4_36
; %bb.5:
	v_mul_u32_u24_e32 v1, 0x3334, v0
	s_clause 0x1
	s_load_b32 s3, s[0:1], 0x4
	s_load_b64 s[4:5], s[0:1], 0x10
	s_delay_alu instid0(VALU_DEP_1) | instskip(NEXT) | instid1(VALU_DEP_1)
	v_lshrrev_b32_e32 v1, 16, v1
	v_mul_lo_u16 v1, v1, 5
	s_delay_alu instid0(VALU_DEP_1) | instskip(NEXT) | instid1(VALU_DEP_1)
	v_sub_nc_u16 v1, v0, v1
	v_and_b32_e32 v7, 0xffff, v1
	s_waitcnt lgkmcnt(0)
	s_cmp_lg_u32 s3, 1
	v_and_b32_e32 v2, 0xffff, v0
	s_cselect_b32 s3, -1, 0
	v_mov_b32_e32 v1, v7
	s_and_b32 vcc_lo, exec_lo, s3
	s_cbranch_vccnz .LBB4_7
; %bb.6:
	v_mul_u32_u24_e32 v1, 0x13b2, v2
	s_delay_alu instid0(VALU_DEP_1) | instskip(NEXT) | instid1(VALU_DEP_1)
	v_lshrrev_b32_e32 v1, 16, v1
	v_mul_lo_u16 v3, v1, 52
	s_delay_alu instid0(VALU_DEP_1) | instskip(NEXT) | instid1(VALU_DEP_1)
	v_lshrrev_b16 v3, 8, v3
	v_mul_lo_u16 v3, v3, 5
	s_delay_alu instid0(VALU_DEP_1) | instskip(NEXT) | instid1(VALU_DEP_1)
	v_sub_nc_u16 v1, v1, v3
	v_and_b32_e32 v1, 0xff, v1
.LBB4_7:
	s_ashr_i32 s9, s8, 31
	v_mov_b32_e32 v6, 0
	s_lshl_b64 s[6:7], s[8:9], 2
	s_delay_alu instid0(SALU_CYCLE_1)
	s_add_u32 s4, s4, s6
	s_addc_u32 s5, s5, s7
	s_load_b64 s[16:17], s[4:5], 0x0
	s_load_b64 s[12:13], s[0:1], 0x40
	s_waitcnt lgkmcnt(0)
	s_cmp_ge_i32 s16, s17
	s_cbranch_scc1 .LBB4_12
; %bb.8:
	s_clause 0x1
	s_load_b128 s[4:7], s[0:1], 0x18
	s_load_b64 s[0:1], s[0:1], 0x30
	v_mad_u64_u32 v[4:5], null, 0x41, s16, v[0:1]
	v_mul_u32_u24_e32 v2, 0x3f1, v2
	v_mov_b32_e32 v3, 0
	s_mul_i32 s9, s14, 0x41
	s_sub_i32 s11, s16, s14
	s_delay_alu instid0(VALU_DEP_2) | instskip(NEXT) | instid1(VALU_DEP_4)
	v_lshrrev_b32_e32 v8, 16, v2
	v_subrev_nc_u32_e32 v2, s9, v4
	v_mov_b32_e32 v6, v3
	s_sub_i32 s9, s17, s14
	s_set_inst_prefetch_distance 0x1
	s_branch .LBB4_10
	.p2align	6
.LBB4_9:                                ;   in Loop: Header=BB4_10 Depth=1
	s_or_b32 exec_lo, exec_lo, s15
	v_add_nc_u32_e32 v2, 0x41, v2
	s_add_i32 s11, s11, 1
	s_delay_alu instid0(SALU_CYCLE_1)
	s_cmp_ge_i32 s11, s9
	s_cbranch_scc1 .LBB4_12
.LBB4_10:                               ; =>This Inner Loop Header: Depth=1
	v_add_nc_u32_e32 v4, s11, v8
	s_mov_b32 s15, exec_lo
	s_delay_alu instid0(VALU_DEP_1)
	v_cmpx_gt_i32_e64 s9, v4
	s_cbranch_execz .LBB4_9
; %bb.11:                               ;   in Loop: Header=BB4_10 Depth=1
	v_ashrrev_i32_e32 v5, 31, v4
	s_delay_alu instid0(VALU_DEP_1) | instskip(SKIP_1) | instid1(VALU_DEP_1)
	v_lshlrev_b64 v[4:5], 2, v[4:5]
	s_waitcnt lgkmcnt(0)
	v_add_co_u32 v4, vcc_lo, s4, v4
	s_delay_alu instid0(VALU_DEP_2) | instskip(SKIP_3) | instid1(VALU_DEP_1)
	v_add_co_ci_u32_e32 v5, vcc_lo, s5, v5, vcc_lo
	global_load_b32 v4, v[4:5], off
	s_waitcnt vmcnt(0)
	v_subrev_nc_u32_e32 v9, s14, v4
	v_mad_u64_u32 v[4:5], null, v9, 5, v[1:2]
	v_lshlrev_b64 v[9:10], 2, v[2:3]
	s_delay_alu instid0(VALU_DEP_1) | instskip(NEXT) | instid1(VALU_DEP_3)
	v_add_co_u32 v9, vcc_lo, s6, v9
	v_ashrrev_i32_e32 v5, 31, v4
	s_delay_alu instid0(VALU_DEP_3) | instskip(NEXT) | instid1(VALU_DEP_2)
	v_add_co_ci_u32_e32 v10, vcc_lo, s7, v10, vcc_lo
	v_lshlrev_b64 v[4:5], 2, v[4:5]
	s_delay_alu instid0(VALU_DEP_1) | instskip(NEXT) | instid1(VALU_DEP_2)
	v_add_co_u32 v4, vcc_lo, s0, v4
	v_add_co_ci_u32_e32 v5, vcc_lo, s1, v5, vcc_lo
	global_load_b32 v9, v[9:10], off
	global_load_b32 v4, v[4:5], off
	s_waitcnt vmcnt(0)
	v_fmac_f32_e32 v6, v9, v4
	s_branch .LBB4_9
.LBB4_12:
	s_set_inst_prefetch_distance 0x2
	v_lshlrev_b32_e32 v1, 2, v0
	s_and_b32 vcc_lo, exec_lo, s3
	ds_store_b32 v1, v6
	s_waitcnt lgkmcnt(0)
	s_barrier
	buffer_gl0_inv
	s_cbranch_vccz .LBB4_22
; %bb.13:
	v_cmp_eq_u16_e32 vcc_lo, 0, v7
	s_and_saveexec_b32 s0, vcc_lo
	s_cbranch_execz .LBB4_15
; %bb.14:
	ds_load_2addr_b32 v[2:3], v1 offset1:4
	s_waitcnt lgkmcnt(0)
	v_add_f32_e32 v2, v3, v2
	ds_store_b32 v1, v2
.LBB4_15:
	s_or_b32 exec_lo, exec_lo, s0
	s_delay_alu instid0(SALU_CYCLE_1)
	s_mov_b32 s1, exec_lo
	s_waitcnt lgkmcnt(0)
	s_barrier
	buffer_gl0_inv
	v_cmpx_gt_u16_e32 2, v7
	s_cbranch_execz .LBB4_17
; %bb.16:
	ds_load_2addr_b32 v[2:3], v1 offset1:2
	s_waitcnt lgkmcnt(0)
	v_add_f32_e32 v2, v3, v2
	ds_store_b32 v1, v2
.LBB4_17:
	s_or_b32 exec_lo, exec_lo, s1
	s_waitcnt lgkmcnt(0)
	s_barrier
	buffer_gl0_inv
	s_and_saveexec_b32 s0, vcc_lo
	s_cbranch_execz .LBB4_19
; %bb.18:
	ds_load_2addr_b32 v[2:3], v1 offset1:1
	s_waitcnt lgkmcnt(0)
	v_add_f32_e32 v2, v3, v2
	ds_store_b32 v1, v2
.LBB4_19:
	s_or_b32 exec_lo, exec_lo, s0
	v_mov_b32_e32 v2, v6
	s_mov_b32 s0, exec_lo
	s_waitcnt lgkmcnt(0)
	s_barrier
	buffer_gl0_inv
	v_cmpx_gt_u32_e32 13, v0
	s_cbranch_execz .LBB4_21
; %bb.20:
	v_lshl_add_u32 v2, v0, 4, v1
	ds_load_b32 v2, v2
.LBB4_21:
	s_or_b32 exec_lo, exec_lo, s0
	v_cmp_gt_u32_e64 s0, 13, v0
	s_branch .LBB4_32
.LBB4_22:
                                        ; implicit-def: $vgpr2
	v_cmp_gt_u32_e64 s0, 13, v0
	s_cbranch_execz .LBB4_32
; %bb.23:
	v_cmp_lt_u32_e32 vcc_lo, 12, v0
	s_delay_alu instid0(VALU_DEP_2)
	s_and_saveexec_b32 s1, s0
	s_cbranch_execz .LBB4_25
; %bb.24:
	s_waitcnt lgkmcnt(0)
	ds_load_2addr_b32 v[2:3], v1 offset1:52
	s_waitcnt lgkmcnt(0)
	v_add_f32_e32 v2, v3, v2
	ds_store_b32 v1, v2
.LBB4_25:
	s_or_b32 exec_lo, exec_lo, s1
	s_delay_alu instid0(SALU_CYCLE_1)
	s_mov_b32 s1, exec_lo
	s_waitcnt lgkmcnt(0)
	s_barrier
	buffer_gl0_inv
	v_cmpx_gt_u32_e32 26, v0
	s_cbranch_execz .LBB4_27
; %bb.26:
	ds_load_2addr_b32 v[2:3], v1 offset1:26
	s_waitcnt lgkmcnt(0)
	v_add_f32_e32 v2, v3, v2
	ds_store_b32 v1, v2
.LBB4_27:
	s_or_b32 exec_lo, exec_lo, s1
	s_waitcnt lgkmcnt(0)
	buffer_gl0_inv
	s_and_saveexec_b32 s0, vcc_lo
	s_delay_alu instid0(SALU_CYCLE_1)
	s_xor_b32 s0, exec_lo, s0
	s_cbranch_execz .LBB4_29
; %bb.28:
	buffer_gl0_inv
                                        ; implicit-def: $vgpr1
.LBB4_29:
	s_and_not1_saveexec_b32 s0, s0
	s_cbranch_execz .LBB4_31
; %bb.30:
	ds_load_2addr_b32 v[2:3], v1 offset1:13
	s_waitcnt lgkmcnt(0)
	v_add_f32_e32 v2, v3, v2
	ds_store_b32 v1, v2
	s_waitcnt lgkmcnt(0)
	buffer_gl0_inv
	ds_load_b32 v6, v1
.LBB4_31:
	s_or_b32 exec_lo, exec_lo, s0
	s_waitcnt lgkmcnt(0)
	v_mov_b32_e32 v2, v6
.LBB4_32:
	s_mov_b32 s0, exec_lo
	v_cmpx_gt_u32_e32 13, v0
	s_cbranch_execz .LBB4_36
; %bb.33:
	v_cmp_eq_f32_e64 s0, s2, 0
	s_waitcnt lgkmcnt(0)
	v_mul_f32_e32 v1, s10, v2
	s_delay_alu instid0(VALU_DEP_2)
	s_and_b32 vcc_lo, exec_lo, s0
	s_mov_b32 s0, 0
	s_cbranch_vccz .LBB4_37
; %bb.34:
	s_delay_alu instid0(VALU_DEP_1) | instskip(SKIP_1) | instid1(VALU_DEP_1)
	v_mad_u64_u32 v[2:3], null, s8, 13, v[0:1]
	v_mov_b32_e32 v3, 0
	v_lshlrev_b64 v[2:3], 2, v[2:3]
	s_delay_alu instid0(VALU_DEP_1) | instskip(NEXT) | instid1(VALU_DEP_2)
	v_add_co_u32 v2, vcc_lo, s12, v2
	v_add_co_ci_u32_e32 v3, vcc_lo, s13, v3, vcc_lo
	global_store_b32 v[2:3], v1, off
	s_and_not1_b32 vcc_lo, exec_lo, s0
	s_cbranch_vccnz .LBB4_36
.LBB4_35:
	v_mad_u64_u32 v[2:3], null, s8, 13, v[0:1]
	v_mov_b32_e32 v3, 0
	s_delay_alu instid0(VALU_DEP_1) | instskip(NEXT) | instid1(VALU_DEP_1)
	v_lshlrev_b64 v[2:3], 2, v[2:3]
	v_add_co_u32 v2, vcc_lo, s12, v2
	s_delay_alu instid0(VALU_DEP_2)
	v_add_co_ci_u32_e32 v3, vcc_lo, s13, v3, vcc_lo
	global_load_b32 v0, v[2:3], off
	s_waitcnt vmcnt(0)
	v_fmac_f32_e32 v1, s2, v0
	global_store_b32 v[2:3], v1, off
.LBB4_36:
	s_nop 0
	s_sendmsg sendmsg(MSG_DEALLOC_VGPRS)
	s_endpgm
.LBB4_37:
	s_branch .LBB4_35
	.section	.rodata,"a",@progbits
	.p2align	6, 0x0
	.amdhsa_kernel _ZN9rocsparseL22gebsrmvn_mxn_16_kernelILj65ELj13ELj5EfEEvi20rocsparse_direction_NS_24const_host_device_scalarIT2_EEPKiS6_PKS3_iiS8_S4_PS3_21rocsparse_index_base_b
		.amdhsa_group_segment_fixed_size 260
		.amdhsa_private_segment_fixed_size 0
		.amdhsa_kernarg_size 80
		.amdhsa_user_sgpr_count 15
		.amdhsa_user_sgpr_dispatch_ptr 0
		.amdhsa_user_sgpr_queue_ptr 0
		.amdhsa_user_sgpr_kernarg_segment_ptr 1
		.amdhsa_user_sgpr_dispatch_id 0
		.amdhsa_user_sgpr_private_segment_size 0
		.amdhsa_wavefront_size32 1
		.amdhsa_uses_dynamic_stack 0
		.amdhsa_enable_private_segment 0
		.amdhsa_system_sgpr_workgroup_id_x 1
		.amdhsa_system_sgpr_workgroup_id_y 0
		.amdhsa_system_sgpr_workgroup_id_z 0
		.amdhsa_system_sgpr_workgroup_info 0
		.amdhsa_system_vgpr_workitem_id 0
		.amdhsa_next_free_vgpr 11
		.amdhsa_next_free_sgpr 18
		.amdhsa_reserve_vcc 1
		.amdhsa_float_round_mode_32 0
		.amdhsa_float_round_mode_16_64 0
		.amdhsa_float_denorm_mode_32 3
		.amdhsa_float_denorm_mode_16_64 3
		.amdhsa_dx10_clamp 1
		.amdhsa_ieee_mode 1
		.amdhsa_fp16_overflow 0
		.amdhsa_workgroup_processor_mode 1
		.amdhsa_memory_ordered 1
		.amdhsa_forward_progress 0
		.amdhsa_shared_vgpr_count 0
		.amdhsa_exception_fp_ieee_invalid_op 0
		.amdhsa_exception_fp_denorm_src 0
		.amdhsa_exception_fp_ieee_div_zero 0
		.amdhsa_exception_fp_ieee_overflow 0
		.amdhsa_exception_fp_ieee_underflow 0
		.amdhsa_exception_fp_ieee_inexact 0
		.amdhsa_exception_int_div_zero 0
	.end_amdhsa_kernel
	.section	.text._ZN9rocsparseL22gebsrmvn_mxn_16_kernelILj65ELj13ELj5EfEEvi20rocsparse_direction_NS_24const_host_device_scalarIT2_EEPKiS6_PKS3_iiS8_S4_PS3_21rocsparse_index_base_b,"axG",@progbits,_ZN9rocsparseL22gebsrmvn_mxn_16_kernelILj65ELj13ELj5EfEEvi20rocsparse_direction_NS_24const_host_device_scalarIT2_EEPKiS6_PKS3_iiS8_S4_PS3_21rocsparse_index_base_b,comdat
.Lfunc_end4:
	.size	_ZN9rocsparseL22gebsrmvn_mxn_16_kernelILj65ELj13ELj5EfEEvi20rocsparse_direction_NS_24const_host_device_scalarIT2_EEPKiS6_PKS3_iiS8_S4_PS3_21rocsparse_index_base_b, .Lfunc_end4-_ZN9rocsparseL22gebsrmvn_mxn_16_kernelILj65ELj13ELj5EfEEvi20rocsparse_direction_NS_24const_host_device_scalarIT2_EEPKiS6_PKS3_iiS8_S4_PS3_21rocsparse_index_base_b
                                        ; -- End function
	.section	.AMDGPU.csdata,"",@progbits
; Kernel info:
; codeLenInByte = 1268
; NumSgprs: 20
; NumVgprs: 11
; ScratchSize: 0
; MemoryBound: 0
; FloatMode: 240
; IeeeMode: 1
; LDSByteSize: 260 bytes/workgroup (compile time only)
; SGPRBlocks: 2
; VGPRBlocks: 1
; NumSGPRsForWavesPerEU: 20
; NumVGPRsForWavesPerEU: 11
; Occupancy: 16
; WaveLimiterHint : 1
; COMPUTE_PGM_RSRC2:SCRATCH_EN: 0
; COMPUTE_PGM_RSRC2:USER_SGPR: 15
; COMPUTE_PGM_RSRC2:TRAP_HANDLER: 0
; COMPUTE_PGM_RSRC2:TGID_X_EN: 1
; COMPUTE_PGM_RSRC2:TGID_Y_EN: 0
; COMPUTE_PGM_RSRC2:TGID_Z_EN: 0
; COMPUTE_PGM_RSRC2:TIDIG_COMP_CNT: 0
	.section	.text._ZN9rocsparseL22gebsrmvn_mxn_16_kernelILj78ELj13ELj6EfEEvi20rocsparse_direction_NS_24const_host_device_scalarIT2_EEPKiS6_PKS3_iiS8_S4_PS3_21rocsparse_index_base_b,"axG",@progbits,_ZN9rocsparseL22gebsrmvn_mxn_16_kernelILj78ELj13ELj6EfEEvi20rocsparse_direction_NS_24const_host_device_scalarIT2_EEPKiS6_PKS3_iiS8_S4_PS3_21rocsparse_index_base_b,comdat
	.globl	_ZN9rocsparseL22gebsrmvn_mxn_16_kernelILj78ELj13ELj6EfEEvi20rocsparse_direction_NS_24const_host_device_scalarIT2_EEPKiS6_PKS3_iiS8_S4_PS3_21rocsparse_index_base_b ; -- Begin function _ZN9rocsparseL22gebsrmvn_mxn_16_kernelILj78ELj13ELj6EfEEvi20rocsparse_direction_NS_24const_host_device_scalarIT2_EEPKiS6_PKS3_iiS8_S4_PS3_21rocsparse_index_base_b
	.p2align	8
	.type	_ZN9rocsparseL22gebsrmvn_mxn_16_kernelILj78ELj13ELj6EfEEvi20rocsparse_direction_NS_24const_host_device_scalarIT2_EEPKiS6_PKS3_iiS8_S4_PS3_21rocsparse_index_base_b,@function
_ZN9rocsparseL22gebsrmvn_mxn_16_kernelILj78ELj13ELj6EfEEvi20rocsparse_direction_NS_24const_host_device_scalarIT2_EEPKiS6_PKS3_iiS8_S4_PS3_21rocsparse_index_base_b: ; @_ZN9rocsparseL22gebsrmvn_mxn_16_kernelILj78ELj13ELj6EfEEvi20rocsparse_direction_NS_24const_host_device_scalarIT2_EEPKiS6_PKS3_iiS8_S4_PS3_21rocsparse_index_base_b
; %bb.0:
	s_mov_b32 s8, s15
	s_clause 0x2
	s_load_b64 s[14:15], s[0:1], 0x48
	s_load_b64 s[10:11], s[0:1], 0x8
	s_load_b64 s[2:3], s[0:1], 0x38
	s_waitcnt lgkmcnt(0)
	s_bitcmp1_b32 s15, 0
	s_cselect_b32 s4, -1, 0
	s_delay_alu instid0(SALU_CYCLE_1)
	s_and_b32 vcc_lo, exec_lo, s4
	s_xor_b32 s4, s4, -1
	s_cbranch_vccnz .LBB5_2
; %bb.1:
	s_load_b32 s10, s[10:11], 0x0
.LBB5_2:
	s_and_not1_b32 vcc_lo, exec_lo, s4
	s_cbranch_vccnz .LBB5_4
; %bb.3:
	s_load_b32 s2, s[2:3], 0x0
.LBB5_4:
	s_waitcnt lgkmcnt(0)
	v_cmp_eq_f32_e64 s3, s10, 0
	v_cmp_eq_f32_e64 s4, s2, 1.0
	s_delay_alu instid0(VALU_DEP_1) | instskip(NEXT) | instid1(SALU_CYCLE_1)
	s_and_b32 s3, s3, s4
	s_and_b32 vcc_lo, exec_lo, s3
	s_cbranch_vccnz .LBB5_36
; %bb.5:
	v_mul_u32_u24_e32 v1, 0x2aab, v0
	s_clause 0x1
	s_load_b32 s3, s[0:1], 0x4
	s_load_b64 s[4:5], s[0:1], 0x10
	s_delay_alu instid0(VALU_DEP_1) | instskip(NEXT) | instid1(VALU_DEP_1)
	v_lshrrev_b32_e32 v1, 16, v1
	v_mul_lo_u16 v1, v1, 6
	s_delay_alu instid0(VALU_DEP_1) | instskip(NEXT) | instid1(VALU_DEP_1)
	v_sub_nc_u16 v1, v0, v1
	v_and_b32_e32 v7, 0xffff, v1
	s_waitcnt lgkmcnt(0)
	s_cmp_lg_u32 s3, 1
	v_and_b32_e32 v2, 0xffff, v0
	s_cselect_b32 s3, -1, 0
	v_mov_b32_e32 v1, v7
	s_and_b32 vcc_lo, exec_lo, s3
	s_cbranch_vccnz .LBB5_7
; %bb.6:
	v_mul_u32_u24_e32 v1, 0x13b2, v2
	s_delay_alu instid0(VALU_DEP_1) | instskip(NEXT) | instid1(VALU_DEP_1)
	v_lshrrev_b32_e32 v1, 16, v1
	v_mul_lo_u16 v3, v1, 43
	s_delay_alu instid0(VALU_DEP_1) | instskip(NEXT) | instid1(VALU_DEP_1)
	v_lshrrev_b16 v3, 8, v3
	v_mul_lo_u16 v3, v3, 6
	s_delay_alu instid0(VALU_DEP_1) | instskip(NEXT) | instid1(VALU_DEP_1)
	v_sub_nc_u16 v1, v1, v3
	v_and_b32_e32 v1, 0xff, v1
.LBB5_7:
	s_ashr_i32 s9, s8, 31
	v_mov_b32_e32 v6, 0
	s_lshl_b64 s[6:7], s[8:9], 2
	s_delay_alu instid0(SALU_CYCLE_1)
	s_add_u32 s4, s4, s6
	s_addc_u32 s5, s5, s7
	s_load_b64 s[16:17], s[4:5], 0x0
	s_load_b64 s[12:13], s[0:1], 0x40
	s_waitcnt lgkmcnt(0)
	s_cmp_ge_i32 s16, s17
	s_cbranch_scc1 .LBB5_12
; %bb.8:
	s_clause 0x1
	s_load_b128 s[4:7], s[0:1], 0x18
	s_load_b64 s[0:1], s[0:1], 0x30
	v_mad_u64_u32 v[4:5], null, 0x4e, s16, v[0:1]
	v_mul_u32_u24_e32 v2, 0x349, v2
	v_mov_b32_e32 v3, 0
	s_mul_i32 s9, s14, 0x4e
	s_sub_i32 s11, s16, s14
	s_delay_alu instid0(VALU_DEP_2) | instskip(NEXT) | instid1(VALU_DEP_4)
	v_lshrrev_b32_e32 v8, 16, v2
	v_subrev_nc_u32_e32 v2, s9, v4
	v_mov_b32_e32 v6, v3
	s_sub_i32 s9, s17, s14
	s_set_inst_prefetch_distance 0x1
	s_branch .LBB5_10
	.p2align	6
.LBB5_9:                                ;   in Loop: Header=BB5_10 Depth=1
	s_or_b32 exec_lo, exec_lo, s15
	v_add_nc_u32_e32 v2, 0x4e, v2
	s_add_i32 s11, s11, 1
	s_delay_alu instid0(SALU_CYCLE_1)
	s_cmp_ge_i32 s11, s9
	s_cbranch_scc1 .LBB5_12
.LBB5_10:                               ; =>This Inner Loop Header: Depth=1
	v_add_nc_u32_e32 v4, s11, v8
	s_mov_b32 s15, exec_lo
	s_delay_alu instid0(VALU_DEP_1)
	v_cmpx_gt_i32_e64 s9, v4
	s_cbranch_execz .LBB5_9
; %bb.11:                               ;   in Loop: Header=BB5_10 Depth=1
	v_ashrrev_i32_e32 v5, 31, v4
	s_delay_alu instid0(VALU_DEP_1) | instskip(SKIP_1) | instid1(VALU_DEP_1)
	v_lshlrev_b64 v[4:5], 2, v[4:5]
	s_waitcnt lgkmcnt(0)
	v_add_co_u32 v4, vcc_lo, s4, v4
	s_delay_alu instid0(VALU_DEP_2) | instskip(SKIP_3) | instid1(VALU_DEP_1)
	v_add_co_ci_u32_e32 v5, vcc_lo, s5, v5, vcc_lo
	global_load_b32 v4, v[4:5], off
	s_waitcnt vmcnt(0)
	v_subrev_nc_u32_e32 v9, s14, v4
	v_mad_u64_u32 v[4:5], null, v9, 6, v[1:2]
	v_lshlrev_b64 v[9:10], 2, v[2:3]
	s_delay_alu instid0(VALU_DEP_1) | instskip(NEXT) | instid1(VALU_DEP_3)
	v_add_co_u32 v9, vcc_lo, s6, v9
	v_ashrrev_i32_e32 v5, 31, v4
	s_delay_alu instid0(VALU_DEP_3) | instskip(NEXT) | instid1(VALU_DEP_2)
	v_add_co_ci_u32_e32 v10, vcc_lo, s7, v10, vcc_lo
	v_lshlrev_b64 v[4:5], 2, v[4:5]
	s_delay_alu instid0(VALU_DEP_1) | instskip(NEXT) | instid1(VALU_DEP_2)
	v_add_co_u32 v4, vcc_lo, s0, v4
	v_add_co_ci_u32_e32 v5, vcc_lo, s1, v5, vcc_lo
	global_load_b32 v9, v[9:10], off
	global_load_b32 v4, v[4:5], off
	s_waitcnt vmcnt(0)
	v_fmac_f32_e32 v6, v9, v4
	s_branch .LBB5_9
.LBB5_12:
	s_set_inst_prefetch_distance 0x2
	v_lshlrev_b32_e32 v1, 2, v0
	s_and_b32 vcc_lo, exec_lo, s3
	ds_store_b32 v1, v6
	s_waitcnt lgkmcnt(0)
	s_barrier
	buffer_gl0_inv
	s_cbranch_vccz .LBB5_22
; %bb.13:
	v_cmp_gt_u16_e32 vcc_lo, 2, v7
	s_and_saveexec_b32 s0, vcc_lo
	s_cbranch_execz .LBB5_15
; %bb.14:
	ds_load_2addr_b32 v[2:3], v1 offset1:4
	s_waitcnt lgkmcnt(0)
	v_add_f32_e32 v2, v3, v2
	ds_store_b32 v1, v2
.LBB5_15:
	s_or_b32 exec_lo, exec_lo, s0
	s_waitcnt lgkmcnt(0)
	s_barrier
	buffer_gl0_inv
	s_and_saveexec_b32 s0, vcc_lo
	s_cbranch_execz .LBB5_17
; %bb.16:
	ds_load_2addr_b32 v[2:3], v1 offset1:2
	s_waitcnt lgkmcnt(0)
	v_add_f32_e32 v2, v3, v2
	ds_store_b32 v1, v2
.LBB5_17:
	s_or_b32 exec_lo, exec_lo, s0
	s_delay_alu instid0(SALU_CYCLE_1)
	s_mov_b32 s0, exec_lo
	s_waitcnt lgkmcnt(0)
	s_barrier
	buffer_gl0_inv
	v_cmpx_eq_u16_e32 0, v7
	s_cbranch_execz .LBB5_19
; %bb.18:
	ds_load_2addr_b32 v[2:3], v1 offset1:1
	s_waitcnt lgkmcnt(0)
	v_add_f32_e32 v2, v3, v2
	ds_store_b32 v1, v2
.LBB5_19:
	s_or_b32 exec_lo, exec_lo, s0
	v_mov_b32_e32 v2, v6
	s_mov_b32 s0, exec_lo
	s_waitcnt lgkmcnt(0)
	s_barrier
	buffer_gl0_inv
	v_cmpx_gt_u32_e32 13, v0
	s_cbranch_execz .LBB5_21
; %bb.20:
	v_mad_u32_u24 v2, v0, 20, v1
	ds_load_b32 v2, v2
.LBB5_21:
	s_or_b32 exec_lo, exec_lo, s0
	s_branch .LBB5_32
.LBB5_22:
                                        ; implicit-def: $vgpr2
	s_cbranch_execz .LBB5_32
; %bb.23:
	v_cmp_gt_u32_e32 vcc_lo, 26, v0
	s_and_saveexec_b32 s0, vcc_lo
	s_cbranch_execz .LBB5_25
; %bb.24:
	s_waitcnt lgkmcnt(0)
	ds_load_2addr_b32 v[2:3], v1 offset1:52
	s_waitcnt lgkmcnt(0)
	v_add_f32_e32 v2, v3, v2
	ds_store_b32 v1, v2
.LBB5_25:
	s_or_b32 exec_lo, exec_lo, s0
	s_waitcnt lgkmcnt(0)
	s_barrier
	buffer_gl0_inv
	s_and_saveexec_b32 s0, vcc_lo
	s_cbranch_execz .LBB5_27
; %bb.26:
	ds_load_2addr_b32 v[2:3], v1 offset1:26
	s_waitcnt lgkmcnt(0)
	v_add_f32_e32 v2, v3, v2
	ds_store_b32 v1, v2
.LBB5_27:
	s_or_b32 exec_lo, exec_lo, s0
	s_delay_alu instid0(SALU_CYCLE_1)
	s_mov_b32 s0, exec_lo
	s_waitcnt lgkmcnt(0)
	buffer_gl0_inv
	v_cmpx_lt_u32_e32 12, v0
	s_xor_b32 s0, exec_lo, s0
	s_cbranch_execz .LBB5_29
; %bb.28:
	buffer_gl0_inv
                                        ; implicit-def: $vgpr1
.LBB5_29:
	s_and_not1_saveexec_b32 s0, s0
	s_cbranch_execz .LBB5_31
; %bb.30:
	ds_load_2addr_b32 v[2:3], v1 offset1:13
	s_waitcnt lgkmcnt(0)
	v_add_f32_e32 v2, v3, v2
	ds_store_b32 v1, v2
	s_waitcnt lgkmcnt(0)
	buffer_gl0_inv
	ds_load_b32 v6, v1
.LBB5_31:
	s_or_b32 exec_lo, exec_lo, s0
	s_waitcnt lgkmcnt(0)
	v_mov_b32_e32 v2, v6
.LBB5_32:
	s_mov_b32 s0, exec_lo
	v_cmpx_gt_u32_e32 13, v0
	s_cbranch_execz .LBB5_36
; %bb.33:
	v_cmp_eq_f32_e64 s0, s2, 0
	s_waitcnt lgkmcnt(0)
	v_mul_f32_e32 v1, s10, v2
	s_delay_alu instid0(VALU_DEP_2)
	s_and_b32 vcc_lo, exec_lo, s0
	s_mov_b32 s0, 0
	s_cbranch_vccz .LBB5_37
; %bb.34:
	s_delay_alu instid0(VALU_DEP_1) | instskip(SKIP_1) | instid1(VALU_DEP_1)
	v_mad_u64_u32 v[2:3], null, s8, 13, v[0:1]
	v_mov_b32_e32 v3, 0
	v_lshlrev_b64 v[2:3], 2, v[2:3]
	s_delay_alu instid0(VALU_DEP_1) | instskip(NEXT) | instid1(VALU_DEP_2)
	v_add_co_u32 v2, vcc_lo, s12, v2
	v_add_co_ci_u32_e32 v3, vcc_lo, s13, v3, vcc_lo
	global_store_b32 v[2:3], v1, off
	s_and_not1_b32 vcc_lo, exec_lo, s0
	s_cbranch_vccnz .LBB5_36
.LBB5_35:
	v_mad_u64_u32 v[2:3], null, s8, 13, v[0:1]
	v_mov_b32_e32 v3, 0
	s_delay_alu instid0(VALU_DEP_1) | instskip(NEXT) | instid1(VALU_DEP_1)
	v_lshlrev_b64 v[2:3], 2, v[2:3]
	v_add_co_u32 v2, vcc_lo, s12, v2
	s_delay_alu instid0(VALU_DEP_2)
	v_add_co_ci_u32_e32 v3, vcc_lo, s13, v3, vcc_lo
	global_load_b32 v0, v[2:3], off
	s_waitcnt vmcnt(0)
	v_fmac_f32_e32 v1, s2, v0
	global_store_b32 v[2:3], v1, off
.LBB5_36:
	s_nop 0
	s_sendmsg sendmsg(MSG_DEALLOC_VGPRS)
	s_endpgm
.LBB5_37:
	s_branch .LBB5_35
	.section	.rodata,"a",@progbits
	.p2align	6, 0x0
	.amdhsa_kernel _ZN9rocsparseL22gebsrmvn_mxn_16_kernelILj78ELj13ELj6EfEEvi20rocsparse_direction_NS_24const_host_device_scalarIT2_EEPKiS6_PKS3_iiS8_S4_PS3_21rocsparse_index_base_b
		.amdhsa_group_segment_fixed_size 312
		.amdhsa_private_segment_fixed_size 0
		.amdhsa_kernarg_size 80
		.amdhsa_user_sgpr_count 15
		.amdhsa_user_sgpr_dispatch_ptr 0
		.amdhsa_user_sgpr_queue_ptr 0
		.amdhsa_user_sgpr_kernarg_segment_ptr 1
		.amdhsa_user_sgpr_dispatch_id 0
		.amdhsa_user_sgpr_private_segment_size 0
		.amdhsa_wavefront_size32 1
		.amdhsa_uses_dynamic_stack 0
		.amdhsa_enable_private_segment 0
		.amdhsa_system_sgpr_workgroup_id_x 1
		.amdhsa_system_sgpr_workgroup_id_y 0
		.amdhsa_system_sgpr_workgroup_id_z 0
		.amdhsa_system_sgpr_workgroup_info 0
		.amdhsa_system_vgpr_workitem_id 0
		.amdhsa_next_free_vgpr 11
		.amdhsa_next_free_sgpr 18
		.amdhsa_reserve_vcc 1
		.amdhsa_float_round_mode_32 0
		.amdhsa_float_round_mode_16_64 0
		.amdhsa_float_denorm_mode_32 3
		.amdhsa_float_denorm_mode_16_64 3
		.amdhsa_dx10_clamp 1
		.amdhsa_ieee_mode 1
		.amdhsa_fp16_overflow 0
		.amdhsa_workgroup_processor_mode 1
		.amdhsa_memory_ordered 1
		.amdhsa_forward_progress 0
		.amdhsa_shared_vgpr_count 0
		.amdhsa_exception_fp_ieee_invalid_op 0
		.amdhsa_exception_fp_denorm_src 0
		.amdhsa_exception_fp_ieee_div_zero 0
		.amdhsa_exception_fp_ieee_overflow 0
		.amdhsa_exception_fp_ieee_underflow 0
		.amdhsa_exception_fp_ieee_inexact 0
		.amdhsa_exception_int_div_zero 0
	.end_amdhsa_kernel
	.section	.text._ZN9rocsparseL22gebsrmvn_mxn_16_kernelILj78ELj13ELj6EfEEvi20rocsparse_direction_NS_24const_host_device_scalarIT2_EEPKiS6_PKS3_iiS8_S4_PS3_21rocsparse_index_base_b,"axG",@progbits,_ZN9rocsparseL22gebsrmvn_mxn_16_kernelILj78ELj13ELj6EfEEvi20rocsparse_direction_NS_24const_host_device_scalarIT2_EEPKiS6_PKS3_iiS8_S4_PS3_21rocsparse_index_base_b,comdat
.Lfunc_end5:
	.size	_ZN9rocsparseL22gebsrmvn_mxn_16_kernelILj78ELj13ELj6EfEEvi20rocsparse_direction_NS_24const_host_device_scalarIT2_EEPKiS6_PKS3_iiS8_S4_PS3_21rocsparse_index_base_b, .Lfunc_end5-_ZN9rocsparseL22gebsrmvn_mxn_16_kernelILj78ELj13ELj6EfEEvi20rocsparse_direction_NS_24const_host_device_scalarIT2_EEPKiS6_PKS3_iiS8_S4_PS3_21rocsparse_index_base_b
                                        ; -- End function
	.section	.AMDGPU.csdata,"",@progbits
; Kernel info:
; codeLenInByte = 1244
; NumSgprs: 20
; NumVgprs: 11
; ScratchSize: 0
; MemoryBound: 0
; FloatMode: 240
; IeeeMode: 1
; LDSByteSize: 312 bytes/workgroup (compile time only)
; SGPRBlocks: 2
; VGPRBlocks: 1
; NumSGPRsForWavesPerEU: 20
; NumVGPRsForWavesPerEU: 11
; Occupancy: 16
; WaveLimiterHint : 1
; COMPUTE_PGM_RSRC2:SCRATCH_EN: 0
; COMPUTE_PGM_RSRC2:USER_SGPR: 15
; COMPUTE_PGM_RSRC2:TRAP_HANDLER: 0
; COMPUTE_PGM_RSRC2:TGID_X_EN: 1
; COMPUTE_PGM_RSRC2:TGID_Y_EN: 0
; COMPUTE_PGM_RSRC2:TGID_Z_EN: 0
; COMPUTE_PGM_RSRC2:TIDIG_COMP_CNT: 0
	.section	.text._ZN9rocsparseL22gebsrmvn_mxn_16_kernelILj91ELj13ELj7EfEEvi20rocsparse_direction_NS_24const_host_device_scalarIT2_EEPKiS6_PKS3_iiS8_S4_PS3_21rocsparse_index_base_b,"axG",@progbits,_ZN9rocsparseL22gebsrmvn_mxn_16_kernelILj91ELj13ELj7EfEEvi20rocsparse_direction_NS_24const_host_device_scalarIT2_EEPKiS6_PKS3_iiS8_S4_PS3_21rocsparse_index_base_b,comdat
	.globl	_ZN9rocsparseL22gebsrmvn_mxn_16_kernelILj91ELj13ELj7EfEEvi20rocsparse_direction_NS_24const_host_device_scalarIT2_EEPKiS6_PKS3_iiS8_S4_PS3_21rocsparse_index_base_b ; -- Begin function _ZN9rocsparseL22gebsrmvn_mxn_16_kernelILj91ELj13ELj7EfEEvi20rocsparse_direction_NS_24const_host_device_scalarIT2_EEPKiS6_PKS3_iiS8_S4_PS3_21rocsparse_index_base_b
	.p2align	8
	.type	_ZN9rocsparseL22gebsrmvn_mxn_16_kernelILj91ELj13ELj7EfEEvi20rocsparse_direction_NS_24const_host_device_scalarIT2_EEPKiS6_PKS3_iiS8_S4_PS3_21rocsparse_index_base_b,@function
_ZN9rocsparseL22gebsrmvn_mxn_16_kernelILj91ELj13ELj7EfEEvi20rocsparse_direction_NS_24const_host_device_scalarIT2_EEPKiS6_PKS3_iiS8_S4_PS3_21rocsparse_index_base_b: ; @_ZN9rocsparseL22gebsrmvn_mxn_16_kernelILj91ELj13ELj7EfEEvi20rocsparse_direction_NS_24const_host_device_scalarIT2_EEPKiS6_PKS3_iiS8_S4_PS3_21rocsparse_index_base_b
; %bb.0:
	s_mov_b32 s8, s15
	s_clause 0x2
	s_load_b64 s[14:15], s[0:1], 0x48
	s_load_b64 s[10:11], s[0:1], 0x8
	;; [unrolled: 1-line block ×3, first 2 shown]
	s_waitcnt lgkmcnt(0)
	s_bitcmp1_b32 s15, 0
	s_cselect_b32 s4, -1, 0
	s_delay_alu instid0(SALU_CYCLE_1)
	s_and_b32 vcc_lo, exec_lo, s4
	s_xor_b32 s4, s4, -1
	s_cbranch_vccnz .LBB6_2
; %bb.1:
	s_load_b32 s10, s[10:11], 0x0
.LBB6_2:
	s_and_not1_b32 vcc_lo, exec_lo, s4
	s_cbranch_vccnz .LBB6_4
; %bb.3:
	s_load_b32 s2, s[2:3], 0x0
.LBB6_4:
	s_waitcnt lgkmcnt(0)
	v_cmp_eq_f32_e64 s3, s10, 0
	v_cmp_eq_f32_e64 s4, s2, 1.0
	s_delay_alu instid0(VALU_DEP_1) | instskip(NEXT) | instid1(SALU_CYCLE_1)
	s_and_b32 s3, s3, s4
	s_and_b32 vcc_lo, exec_lo, s3
	s_cbranch_vccnz .LBB6_36
; %bb.5:
	v_mul_u32_u24_e32 v1, 0x2493, v0
	s_clause 0x1
	s_load_b32 s3, s[0:1], 0x4
	s_load_b64 s[4:5], s[0:1], 0x10
	s_delay_alu instid0(VALU_DEP_1) | instskip(NEXT) | instid1(VALU_DEP_1)
	v_lshrrev_b32_e32 v1, 16, v1
	v_mul_lo_u16 v1, v1, 7
	s_delay_alu instid0(VALU_DEP_1) | instskip(NEXT) | instid1(VALU_DEP_1)
	v_sub_nc_u16 v1, v0, v1
	v_and_b32_e32 v7, 0xffff, v1
	s_waitcnt lgkmcnt(0)
	s_cmp_lg_u32 s3, 1
	v_and_b32_e32 v2, 0xffff, v0
	s_cselect_b32 s3, -1, 0
	v_mov_b32_e32 v1, v7
	s_and_b32 vcc_lo, exec_lo, s3
	s_cbranch_vccnz .LBB6_7
; %bb.6:
	v_mul_u32_u24_e32 v1, 0x13b2, v2
	s_delay_alu instid0(VALU_DEP_1) | instskip(NEXT) | instid1(VALU_DEP_1)
	v_lshrrev_b32_e32 v1, 16, v1
	v_mul_lo_u16 v3, v1, 37
	s_delay_alu instid0(VALU_DEP_1) | instskip(NEXT) | instid1(VALU_DEP_1)
	v_lshrrev_b16 v3, 8, v3
	v_mul_lo_u16 v3, v3, 7
	s_delay_alu instid0(VALU_DEP_1) | instskip(NEXT) | instid1(VALU_DEP_1)
	v_sub_nc_u16 v1, v1, v3
	v_and_b32_e32 v1, 0xff, v1
.LBB6_7:
	s_ashr_i32 s9, s8, 31
	v_mov_b32_e32 v6, 0
	s_lshl_b64 s[6:7], s[8:9], 2
	s_delay_alu instid0(SALU_CYCLE_1)
	s_add_u32 s4, s4, s6
	s_addc_u32 s5, s5, s7
	s_load_b64 s[16:17], s[4:5], 0x0
	s_load_b64 s[12:13], s[0:1], 0x40
	s_waitcnt lgkmcnt(0)
	s_cmp_ge_i32 s16, s17
	s_cbranch_scc1 .LBB6_12
; %bb.8:
	s_clause 0x1
	s_load_b128 s[4:7], s[0:1], 0x18
	s_load_b64 s[0:1], s[0:1], 0x30
	v_mad_u64_u32 v[4:5], null, 0x5b, s16, v[0:1]
	v_mul_u32_u24_e32 v2, 0x2d1, v2
	v_mov_b32_e32 v3, 0
	s_mul_i32 s9, s14, 0x5b
	s_sub_i32 s11, s16, s14
	s_delay_alu instid0(VALU_DEP_2) | instskip(NEXT) | instid1(VALU_DEP_4)
	v_lshrrev_b32_e32 v8, 16, v2
	v_subrev_nc_u32_e32 v2, s9, v4
	v_mov_b32_e32 v6, v3
	s_sub_i32 s9, s17, s14
	s_set_inst_prefetch_distance 0x1
	s_branch .LBB6_10
	.p2align	6
.LBB6_9:                                ;   in Loop: Header=BB6_10 Depth=1
	s_or_b32 exec_lo, exec_lo, s15
	v_add_nc_u32_e32 v2, 0x5b, v2
	s_add_i32 s11, s11, 1
	s_delay_alu instid0(SALU_CYCLE_1)
	s_cmp_ge_i32 s11, s9
	s_cbranch_scc1 .LBB6_12
.LBB6_10:                               ; =>This Inner Loop Header: Depth=1
	v_add_nc_u32_e32 v4, s11, v8
	s_mov_b32 s15, exec_lo
	s_delay_alu instid0(VALU_DEP_1)
	v_cmpx_gt_i32_e64 s9, v4
	s_cbranch_execz .LBB6_9
; %bb.11:                               ;   in Loop: Header=BB6_10 Depth=1
	v_ashrrev_i32_e32 v5, 31, v4
	s_delay_alu instid0(VALU_DEP_1) | instskip(SKIP_1) | instid1(VALU_DEP_1)
	v_lshlrev_b64 v[4:5], 2, v[4:5]
	s_waitcnt lgkmcnt(0)
	v_add_co_u32 v4, vcc_lo, s4, v4
	s_delay_alu instid0(VALU_DEP_2) | instskip(SKIP_3) | instid1(VALU_DEP_1)
	v_add_co_ci_u32_e32 v5, vcc_lo, s5, v5, vcc_lo
	global_load_b32 v4, v[4:5], off
	s_waitcnt vmcnt(0)
	v_subrev_nc_u32_e32 v9, s14, v4
	v_mad_u64_u32 v[4:5], null, v9, 7, v[1:2]
	v_lshlrev_b64 v[9:10], 2, v[2:3]
	s_delay_alu instid0(VALU_DEP_1) | instskip(NEXT) | instid1(VALU_DEP_3)
	v_add_co_u32 v9, vcc_lo, s6, v9
	v_ashrrev_i32_e32 v5, 31, v4
	s_delay_alu instid0(VALU_DEP_3) | instskip(NEXT) | instid1(VALU_DEP_2)
	v_add_co_ci_u32_e32 v10, vcc_lo, s7, v10, vcc_lo
	v_lshlrev_b64 v[4:5], 2, v[4:5]
	s_delay_alu instid0(VALU_DEP_1) | instskip(NEXT) | instid1(VALU_DEP_2)
	v_add_co_u32 v4, vcc_lo, s0, v4
	v_add_co_ci_u32_e32 v5, vcc_lo, s1, v5, vcc_lo
	global_load_b32 v9, v[9:10], off
	global_load_b32 v4, v[4:5], off
	s_waitcnt vmcnt(0)
	v_fmac_f32_e32 v6, v9, v4
	s_branch .LBB6_9
.LBB6_12:
	s_set_inst_prefetch_distance 0x2
	v_lshlrev_b32_e32 v1, 2, v0
	s_and_b32 vcc_lo, exec_lo, s3
	ds_store_b32 v1, v6
	s_waitcnt lgkmcnt(0)
	s_barrier
	buffer_gl0_inv
	s_cbranch_vccz .LBB6_22
; %bb.13:
	s_mov_b32 s0, exec_lo
	v_cmpx_gt_u16_e32 3, v7
	s_cbranch_execz .LBB6_15
; %bb.14:
	ds_load_2addr_b32 v[2:3], v1 offset1:4
	s_waitcnt lgkmcnt(0)
	v_add_f32_e32 v2, v3, v2
	ds_store_b32 v1, v2
.LBB6_15:
	s_or_b32 exec_lo, exec_lo, s0
	s_delay_alu instid0(SALU_CYCLE_1)
	s_mov_b32 s0, exec_lo
	s_waitcnt lgkmcnt(0)
	s_barrier
	buffer_gl0_inv
	v_cmpx_gt_u16_e32 2, v7
	s_cbranch_execz .LBB6_17
; %bb.16:
	ds_load_2addr_b32 v[2:3], v1 offset1:2
	s_waitcnt lgkmcnt(0)
	v_add_f32_e32 v2, v3, v2
	ds_store_b32 v1, v2
.LBB6_17:
	s_or_b32 exec_lo, exec_lo, s0
	s_delay_alu instid0(SALU_CYCLE_1)
	s_mov_b32 s0, exec_lo
	s_waitcnt lgkmcnt(0)
	s_barrier
	buffer_gl0_inv
	v_cmpx_eq_u16_e32 0, v7
	s_cbranch_execz .LBB6_19
; %bb.18:
	ds_load_2addr_b32 v[2:3], v1 offset1:1
	s_waitcnt lgkmcnt(0)
	v_add_f32_e32 v2, v3, v2
	ds_store_b32 v1, v2
.LBB6_19:
	s_or_b32 exec_lo, exec_lo, s0
	v_mov_b32_e32 v2, v6
	s_mov_b32 s0, exec_lo
	s_waitcnt lgkmcnt(0)
	s_barrier
	buffer_gl0_inv
	v_cmpx_gt_u32_e32 13, v0
	s_cbranch_execz .LBB6_21
; %bb.20:
	v_mad_u32_u24 v2, v0, 24, v1
	ds_load_b32 v2, v2
.LBB6_21:
	s_or_b32 exec_lo, exec_lo, s0
	s_branch .LBB6_32
.LBB6_22:
                                        ; implicit-def: $vgpr2
	s_cbranch_execz .LBB6_32
; %bb.23:
	s_mov_b32 s0, exec_lo
	v_cmpx_gt_u32_e32 39, v0
	s_cbranch_execz .LBB6_25
; %bb.24:
	s_waitcnt lgkmcnt(0)
	ds_load_2addr_b32 v[2:3], v1 offset1:52
	s_waitcnt lgkmcnt(0)
	v_add_f32_e32 v2, v3, v2
	ds_store_b32 v1, v2
.LBB6_25:
	s_or_b32 exec_lo, exec_lo, s0
	s_delay_alu instid0(SALU_CYCLE_1)
	s_mov_b32 s0, exec_lo
	s_waitcnt lgkmcnt(0)
	s_barrier
	buffer_gl0_inv
	v_cmpx_gt_u32_e32 26, v0
	s_cbranch_execz .LBB6_27
; %bb.26:
	ds_load_2addr_b32 v[2:3], v1 offset1:26
	s_waitcnt lgkmcnt(0)
	v_add_f32_e32 v2, v3, v2
	ds_store_b32 v1, v2
.LBB6_27:
	s_or_b32 exec_lo, exec_lo, s0
	s_delay_alu instid0(SALU_CYCLE_1)
	s_mov_b32 s0, exec_lo
	s_waitcnt lgkmcnt(0)
	buffer_gl0_inv
	v_cmpx_lt_u32_e32 12, v0
	s_xor_b32 s0, exec_lo, s0
	s_cbranch_execz .LBB6_29
; %bb.28:
	buffer_gl0_inv
                                        ; implicit-def: $vgpr1
.LBB6_29:
	s_and_not1_saveexec_b32 s0, s0
	s_cbranch_execz .LBB6_31
; %bb.30:
	ds_load_2addr_b32 v[2:3], v1 offset1:13
	s_waitcnt lgkmcnt(0)
	v_add_f32_e32 v2, v3, v2
	ds_store_b32 v1, v2
	s_waitcnt lgkmcnt(0)
	buffer_gl0_inv
	ds_load_b32 v6, v1
.LBB6_31:
	s_or_b32 exec_lo, exec_lo, s0
	s_waitcnt lgkmcnt(0)
	v_mov_b32_e32 v2, v6
.LBB6_32:
	s_mov_b32 s0, exec_lo
	v_cmpx_gt_u32_e32 13, v0
	s_cbranch_execz .LBB6_36
; %bb.33:
	v_cmp_eq_f32_e64 s0, s2, 0
	s_waitcnt lgkmcnt(0)
	v_mul_f32_e32 v1, s10, v2
	s_delay_alu instid0(VALU_DEP_2)
	s_and_b32 vcc_lo, exec_lo, s0
	s_mov_b32 s0, 0
	s_cbranch_vccz .LBB6_37
; %bb.34:
	s_delay_alu instid0(VALU_DEP_1) | instskip(SKIP_1) | instid1(VALU_DEP_1)
	v_mad_u64_u32 v[2:3], null, s8, 13, v[0:1]
	v_mov_b32_e32 v3, 0
	v_lshlrev_b64 v[2:3], 2, v[2:3]
	s_delay_alu instid0(VALU_DEP_1) | instskip(NEXT) | instid1(VALU_DEP_2)
	v_add_co_u32 v2, vcc_lo, s12, v2
	v_add_co_ci_u32_e32 v3, vcc_lo, s13, v3, vcc_lo
	global_store_b32 v[2:3], v1, off
	s_and_not1_b32 vcc_lo, exec_lo, s0
	s_cbranch_vccnz .LBB6_36
.LBB6_35:
	v_mad_u64_u32 v[2:3], null, s8, 13, v[0:1]
	v_mov_b32_e32 v3, 0
	s_delay_alu instid0(VALU_DEP_1) | instskip(NEXT) | instid1(VALU_DEP_1)
	v_lshlrev_b64 v[2:3], 2, v[2:3]
	v_add_co_u32 v2, vcc_lo, s12, v2
	s_delay_alu instid0(VALU_DEP_2)
	v_add_co_ci_u32_e32 v3, vcc_lo, s13, v3, vcc_lo
	global_load_b32 v0, v[2:3], off
	s_waitcnt vmcnt(0)
	v_fmac_f32_e32 v1, s2, v0
	global_store_b32 v[2:3], v1, off
.LBB6_36:
	s_nop 0
	s_sendmsg sendmsg(MSG_DEALLOC_VGPRS)
	s_endpgm
.LBB6_37:
	s_branch .LBB6_35
	.section	.rodata,"a",@progbits
	.p2align	6, 0x0
	.amdhsa_kernel _ZN9rocsparseL22gebsrmvn_mxn_16_kernelILj91ELj13ELj7EfEEvi20rocsparse_direction_NS_24const_host_device_scalarIT2_EEPKiS6_PKS3_iiS8_S4_PS3_21rocsparse_index_base_b
		.amdhsa_group_segment_fixed_size 364
		.amdhsa_private_segment_fixed_size 0
		.amdhsa_kernarg_size 80
		.amdhsa_user_sgpr_count 15
		.amdhsa_user_sgpr_dispatch_ptr 0
		.amdhsa_user_sgpr_queue_ptr 0
		.amdhsa_user_sgpr_kernarg_segment_ptr 1
		.amdhsa_user_sgpr_dispatch_id 0
		.amdhsa_user_sgpr_private_segment_size 0
		.amdhsa_wavefront_size32 1
		.amdhsa_uses_dynamic_stack 0
		.amdhsa_enable_private_segment 0
		.amdhsa_system_sgpr_workgroup_id_x 1
		.amdhsa_system_sgpr_workgroup_id_y 0
		.amdhsa_system_sgpr_workgroup_id_z 0
		.amdhsa_system_sgpr_workgroup_info 0
		.amdhsa_system_vgpr_workitem_id 0
		.amdhsa_next_free_vgpr 11
		.amdhsa_next_free_sgpr 18
		.amdhsa_reserve_vcc 1
		.amdhsa_float_round_mode_32 0
		.amdhsa_float_round_mode_16_64 0
		.amdhsa_float_denorm_mode_32 3
		.amdhsa_float_denorm_mode_16_64 3
		.amdhsa_dx10_clamp 1
		.amdhsa_ieee_mode 1
		.amdhsa_fp16_overflow 0
		.amdhsa_workgroup_processor_mode 1
		.amdhsa_memory_ordered 1
		.amdhsa_forward_progress 0
		.amdhsa_shared_vgpr_count 0
		.amdhsa_exception_fp_ieee_invalid_op 0
		.amdhsa_exception_fp_denorm_src 0
		.amdhsa_exception_fp_ieee_div_zero 0
		.amdhsa_exception_fp_ieee_overflow 0
		.amdhsa_exception_fp_ieee_underflow 0
		.amdhsa_exception_fp_ieee_inexact 0
		.amdhsa_exception_int_div_zero 0
	.end_amdhsa_kernel
	.section	.text._ZN9rocsparseL22gebsrmvn_mxn_16_kernelILj91ELj13ELj7EfEEvi20rocsparse_direction_NS_24const_host_device_scalarIT2_EEPKiS6_PKS3_iiS8_S4_PS3_21rocsparse_index_base_b,"axG",@progbits,_ZN9rocsparseL22gebsrmvn_mxn_16_kernelILj91ELj13ELj7EfEEvi20rocsparse_direction_NS_24const_host_device_scalarIT2_EEPKiS6_PKS3_iiS8_S4_PS3_21rocsparse_index_base_b,comdat
.Lfunc_end6:
	.size	_ZN9rocsparseL22gebsrmvn_mxn_16_kernelILj91ELj13ELj7EfEEvi20rocsparse_direction_NS_24const_host_device_scalarIT2_EEPKiS6_PKS3_iiS8_S4_PS3_21rocsparse_index_base_b, .Lfunc_end6-_ZN9rocsparseL22gebsrmvn_mxn_16_kernelILj91ELj13ELj7EfEEvi20rocsparse_direction_NS_24const_host_device_scalarIT2_EEPKiS6_PKS3_iiS8_S4_PS3_21rocsparse_index_base_b
                                        ; -- End function
	.section	.AMDGPU.csdata,"",@progbits
; Kernel info:
; codeLenInByte = 1260
; NumSgprs: 20
; NumVgprs: 11
; ScratchSize: 0
; MemoryBound: 0
; FloatMode: 240
; IeeeMode: 1
; LDSByteSize: 364 bytes/workgroup (compile time only)
; SGPRBlocks: 2
; VGPRBlocks: 1
; NumSGPRsForWavesPerEU: 20
; NumVGPRsForWavesPerEU: 11
; Occupancy: 16
; WaveLimiterHint : 1
; COMPUTE_PGM_RSRC2:SCRATCH_EN: 0
; COMPUTE_PGM_RSRC2:USER_SGPR: 15
; COMPUTE_PGM_RSRC2:TRAP_HANDLER: 0
; COMPUTE_PGM_RSRC2:TGID_X_EN: 1
; COMPUTE_PGM_RSRC2:TGID_Y_EN: 0
; COMPUTE_PGM_RSRC2:TGID_Z_EN: 0
; COMPUTE_PGM_RSRC2:TIDIG_COMP_CNT: 0
	.section	.text._ZN9rocsparseL22gebsrmvn_mxn_16_kernelILj104ELj13ELj8EfEEvi20rocsparse_direction_NS_24const_host_device_scalarIT2_EEPKiS6_PKS3_iiS8_S4_PS3_21rocsparse_index_base_b,"axG",@progbits,_ZN9rocsparseL22gebsrmvn_mxn_16_kernelILj104ELj13ELj8EfEEvi20rocsparse_direction_NS_24const_host_device_scalarIT2_EEPKiS6_PKS3_iiS8_S4_PS3_21rocsparse_index_base_b,comdat
	.globl	_ZN9rocsparseL22gebsrmvn_mxn_16_kernelILj104ELj13ELj8EfEEvi20rocsparse_direction_NS_24const_host_device_scalarIT2_EEPKiS6_PKS3_iiS8_S4_PS3_21rocsparse_index_base_b ; -- Begin function _ZN9rocsparseL22gebsrmvn_mxn_16_kernelILj104ELj13ELj8EfEEvi20rocsparse_direction_NS_24const_host_device_scalarIT2_EEPKiS6_PKS3_iiS8_S4_PS3_21rocsparse_index_base_b
	.p2align	8
	.type	_ZN9rocsparseL22gebsrmvn_mxn_16_kernelILj104ELj13ELj8EfEEvi20rocsparse_direction_NS_24const_host_device_scalarIT2_EEPKiS6_PKS3_iiS8_S4_PS3_21rocsparse_index_base_b,@function
_ZN9rocsparseL22gebsrmvn_mxn_16_kernelILj104ELj13ELj8EfEEvi20rocsparse_direction_NS_24const_host_device_scalarIT2_EEPKiS6_PKS3_iiS8_S4_PS3_21rocsparse_index_base_b: ; @_ZN9rocsparseL22gebsrmvn_mxn_16_kernelILj104ELj13ELj8EfEEvi20rocsparse_direction_NS_24const_host_device_scalarIT2_EEPKiS6_PKS3_iiS8_S4_PS3_21rocsparse_index_base_b
; %bb.0:
	s_mov_b32 s8, s15
	s_clause 0x2
	s_load_b64 s[14:15], s[0:1], 0x48
	s_load_b64 s[10:11], s[0:1], 0x8
	;; [unrolled: 1-line block ×3, first 2 shown]
	s_waitcnt lgkmcnt(0)
	s_bitcmp1_b32 s15, 0
	s_cselect_b32 s4, -1, 0
	s_delay_alu instid0(SALU_CYCLE_1)
	s_and_b32 vcc_lo, exec_lo, s4
	s_xor_b32 s4, s4, -1
	s_cbranch_vccnz .LBB7_2
; %bb.1:
	s_load_b32 s10, s[10:11], 0x0
.LBB7_2:
	s_and_not1_b32 vcc_lo, exec_lo, s4
	s_cbranch_vccnz .LBB7_4
; %bb.3:
	s_load_b32 s2, s[2:3], 0x0
.LBB7_4:
	s_waitcnt lgkmcnt(0)
	v_cmp_eq_f32_e64 s3, s10, 0
	v_cmp_eq_f32_e64 s4, s2, 1.0
	s_delay_alu instid0(VALU_DEP_1) | instskip(NEXT) | instid1(SALU_CYCLE_1)
	s_and_b32 s3, s3, s4
	s_and_b32 vcc_lo, exec_lo, s3
	s_cbranch_vccnz .LBB7_36
; %bb.5:
	s_clause 0x1
	s_load_b32 s3, s[0:1], 0x4
	s_load_b64 s[4:5], s[0:1], 0x10
	v_and_b32_e32 v6, 7, v0
	s_delay_alu instid0(VALU_DEP_1) | instskip(SKIP_3) | instid1(SALU_CYCLE_1)
	v_mov_b32_e32 v7, v6
	s_waitcnt lgkmcnt(0)
	s_cmp_lg_u32 s3, 1
	s_cselect_b32 s3, -1, 0
	s_and_b32 vcc_lo, exec_lo, s3
	s_cbranch_vccnz .LBB7_7
; %bb.6:
	v_mul_u32_u24_e32 v1, 0x13b2, v0
	s_delay_alu instid0(VALU_DEP_1)
	v_bfe_u32 v7, v1, 16, 3
.LBB7_7:
	s_ashr_i32 s9, s8, 31
	v_mov_b32_e32 v5, 0
	s_lshl_b64 s[6:7], s[8:9], 2
	s_delay_alu instid0(SALU_CYCLE_1)
	s_add_u32 s4, s4, s6
	s_addc_u32 s5, s5, s7
	s_load_b64 s[16:17], s[4:5], 0x0
	s_load_b64 s[12:13], s[0:1], 0x40
	s_waitcnt lgkmcnt(0)
	s_cmp_ge_i32 s16, s17
	s_cbranch_scc1 .LBB7_12
; %bb.8:
	s_clause 0x1
	s_load_b128 s[4:7], s[0:1], 0x18
	s_load_b64 s[0:1], s[0:1], 0x30
	v_mad_u64_u32 v[1:2], null, 0x68, s16, v[0:1]
	v_mul_u32_u24_e32 v3, 0x277, v0
	v_mov_b32_e32 v2, 0
	s_mul_i32 s9, s14, 0x68
	s_sub_i32 s11, s16, s14
	s_delay_alu instid0(VALU_DEP_2) | instskip(NEXT) | instid1(VALU_DEP_4)
	v_lshrrev_b32_e32 v8, 16, v3
	v_subrev_nc_u32_e32 v1, s9, v1
	v_mov_b32_e32 v5, v2
	s_sub_i32 s9, s17, s14
	s_set_inst_prefetch_distance 0x1
	s_branch .LBB7_10
	.p2align	6
.LBB7_9:                                ;   in Loop: Header=BB7_10 Depth=1
	s_or_b32 exec_lo, exec_lo, s15
	v_add_nc_u32_e32 v1, 0x68, v1
	s_add_i32 s11, s11, 1
	s_delay_alu instid0(SALU_CYCLE_1)
	s_cmp_ge_i32 s11, s9
	s_cbranch_scc1 .LBB7_12
.LBB7_10:                               ; =>This Inner Loop Header: Depth=1
	v_add_nc_u32_e32 v3, s11, v8
	s_mov_b32 s15, exec_lo
	s_delay_alu instid0(VALU_DEP_1)
	v_cmpx_gt_i32_e64 s9, v3
	s_cbranch_execz .LBB7_9
; %bb.11:                               ;   in Loop: Header=BB7_10 Depth=1
	v_ashrrev_i32_e32 v4, 31, v3
	v_lshlrev_b64 v[9:10], 2, v[1:2]
	s_delay_alu instid0(VALU_DEP_2) | instskip(SKIP_1) | instid1(VALU_DEP_1)
	v_lshlrev_b64 v[3:4], 2, v[3:4]
	s_waitcnt lgkmcnt(0)
	v_add_co_u32 v3, vcc_lo, s4, v3
	s_delay_alu instid0(VALU_DEP_2) | instskip(NEXT) | instid1(VALU_DEP_4)
	v_add_co_ci_u32_e32 v4, vcc_lo, s5, v4, vcc_lo
	v_add_co_u32 v9, vcc_lo, s6, v9
	v_add_co_ci_u32_e32 v10, vcc_lo, s7, v10, vcc_lo
	global_load_b32 v3, v[3:4], off
	s_waitcnt vmcnt(0)
	v_subrev_nc_u32_e32 v3, s14, v3
	s_delay_alu instid0(VALU_DEP_1) | instskip(NEXT) | instid1(VALU_DEP_1)
	v_lshl_or_b32 v3, v3, 3, v7
	v_ashrrev_i32_e32 v4, 31, v3
	s_delay_alu instid0(VALU_DEP_1) | instskip(NEXT) | instid1(VALU_DEP_1)
	v_lshlrev_b64 v[3:4], 2, v[3:4]
	v_add_co_u32 v3, vcc_lo, s0, v3
	s_delay_alu instid0(VALU_DEP_2)
	v_add_co_ci_u32_e32 v4, vcc_lo, s1, v4, vcc_lo
	global_load_b32 v9, v[9:10], off
	global_load_b32 v3, v[3:4], off
	s_waitcnt vmcnt(0)
	v_fmac_f32_e32 v5, v9, v3
	s_branch .LBB7_9
.LBB7_12:
	s_set_inst_prefetch_distance 0x2
	v_lshlrev_b32_e32 v1, 2, v0
	s_and_b32 vcc_lo, exec_lo, s3
	ds_store_b32 v1, v5
	s_waitcnt lgkmcnt(0)
	s_barrier
	buffer_gl0_inv
	s_cbranch_vccz .LBB7_22
; %bb.13:
	s_mov_b32 s0, exec_lo
	v_cmpx_gt_u32_e32 4, v6
	s_cbranch_execz .LBB7_15
; %bb.14:
	ds_load_2addr_b32 v[2:3], v1 offset1:4
	s_waitcnt lgkmcnt(0)
	v_add_f32_e32 v2, v3, v2
	ds_store_b32 v1, v2
.LBB7_15:
	s_or_b32 exec_lo, exec_lo, s0
	s_delay_alu instid0(SALU_CYCLE_1)
	s_mov_b32 s0, exec_lo
	s_waitcnt lgkmcnt(0)
	s_barrier
	buffer_gl0_inv
	v_cmpx_gt_u32_e32 2, v6
	s_cbranch_execz .LBB7_17
; %bb.16:
	ds_load_2addr_b32 v[2:3], v1 offset1:2
	s_waitcnt lgkmcnt(0)
	v_add_f32_e32 v2, v3, v2
	ds_store_b32 v1, v2
.LBB7_17:
	s_or_b32 exec_lo, exec_lo, s0
	s_delay_alu instid0(SALU_CYCLE_1)
	s_mov_b32 s0, exec_lo
	s_waitcnt lgkmcnt(0)
	s_barrier
	buffer_gl0_inv
	v_cmpx_eq_u32_e32 0, v6
	s_cbranch_execz .LBB7_19
; %bb.18:
	ds_load_2addr_b32 v[2:3], v1 offset1:1
	s_waitcnt lgkmcnt(0)
	v_add_f32_e32 v2, v3, v2
	ds_store_b32 v1, v2
.LBB7_19:
	s_or_b32 exec_lo, exec_lo, s0
	v_mov_b32_e32 v2, v5
	s_mov_b32 s0, exec_lo
	s_waitcnt lgkmcnt(0)
	s_barrier
	buffer_gl0_inv
	v_cmpx_gt_u32_e32 13, v0
	s_cbranch_execz .LBB7_21
; %bb.20:
	v_mad_u32_u24 v2, v0, 28, v1
	ds_load_b32 v2, v2
.LBB7_21:
	s_or_b32 exec_lo, exec_lo, s0
	s_branch .LBB7_32
.LBB7_22:
                                        ; implicit-def: $vgpr2
	s_cbranch_execz .LBB7_32
; %bb.23:
	s_mov_b32 s0, exec_lo
	v_cmpx_gt_u32_e32 52, v0
	s_cbranch_execz .LBB7_25
; %bb.24:
	s_waitcnt lgkmcnt(0)
	ds_load_2addr_b32 v[2:3], v1 offset1:52
	s_waitcnt lgkmcnt(0)
	v_add_f32_e32 v2, v3, v2
	ds_store_b32 v1, v2
.LBB7_25:
	s_or_b32 exec_lo, exec_lo, s0
	s_delay_alu instid0(SALU_CYCLE_1)
	s_mov_b32 s0, exec_lo
	s_waitcnt lgkmcnt(0)
	s_barrier
	buffer_gl0_inv
	v_cmpx_gt_u32_e32 26, v0
	s_cbranch_execz .LBB7_27
; %bb.26:
	ds_load_2addr_b32 v[2:3], v1 offset1:26
	s_waitcnt lgkmcnt(0)
	v_add_f32_e32 v2, v3, v2
	ds_store_b32 v1, v2
.LBB7_27:
	s_or_b32 exec_lo, exec_lo, s0
	s_delay_alu instid0(SALU_CYCLE_1)
	s_mov_b32 s0, exec_lo
	s_waitcnt lgkmcnt(0)
	buffer_gl0_inv
	v_cmpx_lt_u32_e32 12, v0
	s_xor_b32 s0, exec_lo, s0
	s_cbranch_execz .LBB7_29
; %bb.28:
	buffer_gl0_inv
                                        ; implicit-def: $vgpr1
.LBB7_29:
	s_and_not1_saveexec_b32 s0, s0
	s_cbranch_execz .LBB7_31
; %bb.30:
	ds_load_2addr_b32 v[2:3], v1 offset1:13
	s_waitcnt lgkmcnt(0)
	v_add_f32_e32 v2, v3, v2
	ds_store_b32 v1, v2
	s_waitcnt lgkmcnt(0)
	buffer_gl0_inv
	ds_load_b32 v5, v1
.LBB7_31:
	s_or_b32 exec_lo, exec_lo, s0
	s_waitcnt lgkmcnt(0)
	v_mov_b32_e32 v2, v5
.LBB7_32:
	s_mov_b32 s0, exec_lo
	v_cmpx_gt_u32_e32 13, v0
	s_cbranch_execz .LBB7_36
; %bb.33:
	v_cmp_eq_f32_e64 s0, s2, 0
	s_waitcnt lgkmcnt(0)
	v_mul_f32_e32 v1, s10, v2
	s_delay_alu instid0(VALU_DEP_2)
	s_and_b32 vcc_lo, exec_lo, s0
	s_mov_b32 s0, 0
	s_cbranch_vccz .LBB7_37
; %bb.34:
	s_delay_alu instid0(VALU_DEP_1) | instskip(SKIP_1) | instid1(VALU_DEP_1)
	v_mad_u64_u32 v[2:3], null, s8, 13, v[0:1]
	v_mov_b32_e32 v3, 0
	v_lshlrev_b64 v[2:3], 2, v[2:3]
	s_delay_alu instid0(VALU_DEP_1) | instskip(NEXT) | instid1(VALU_DEP_2)
	v_add_co_u32 v2, vcc_lo, s12, v2
	v_add_co_ci_u32_e32 v3, vcc_lo, s13, v3, vcc_lo
	global_store_b32 v[2:3], v1, off
	s_and_not1_b32 vcc_lo, exec_lo, s0
	s_cbranch_vccnz .LBB7_36
.LBB7_35:
	v_mad_u64_u32 v[2:3], null, s8, 13, v[0:1]
	v_mov_b32_e32 v3, 0
	s_delay_alu instid0(VALU_DEP_1) | instskip(NEXT) | instid1(VALU_DEP_1)
	v_lshlrev_b64 v[2:3], 2, v[2:3]
	v_add_co_u32 v2, vcc_lo, s12, v2
	s_delay_alu instid0(VALU_DEP_2)
	v_add_co_ci_u32_e32 v3, vcc_lo, s13, v3, vcc_lo
	global_load_b32 v0, v[2:3], off
	s_waitcnt vmcnt(0)
	v_fmac_f32_e32 v1, s2, v0
	global_store_b32 v[2:3], v1, off
.LBB7_36:
	s_nop 0
	s_sendmsg sendmsg(MSG_DEALLOC_VGPRS)
	s_endpgm
.LBB7_37:
	s_branch .LBB7_35
	.section	.rodata,"a",@progbits
	.p2align	6, 0x0
	.amdhsa_kernel _ZN9rocsparseL22gebsrmvn_mxn_16_kernelILj104ELj13ELj8EfEEvi20rocsparse_direction_NS_24const_host_device_scalarIT2_EEPKiS6_PKS3_iiS8_S4_PS3_21rocsparse_index_base_b
		.amdhsa_group_segment_fixed_size 416
		.amdhsa_private_segment_fixed_size 0
		.amdhsa_kernarg_size 80
		.amdhsa_user_sgpr_count 15
		.amdhsa_user_sgpr_dispatch_ptr 0
		.amdhsa_user_sgpr_queue_ptr 0
		.amdhsa_user_sgpr_kernarg_segment_ptr 1
		.amdhsa_user_sgpr_dispatch_id 0
		.amdhsa_user_sgpr_private_segment_size 0
		.amdhsa_wavefront_size32 1
		.amdhsa_uses_dynamic_stack 0
		.amdhsa_enable_private_segment 0
		.amdhsa_system_sgpr_workgroup_id_x 1
		.amdhsa_system_sgpr_workgroup_id_y 0
		.amdhsa_system_sgpr_workgroup_id_z 0
		.amdhsa_system_sgpr_workgroup_info 0
		.amdhsa_system_vgpr_workitem_id 0
		.amdhsa_next_free_vgpr 11
		.amdhsa_next_free_sgpr 18
		.amdhsa_reserve_vcc 1
		.amdhsa_float_round_mode_32 0
		.amdhsa_float_round_mode_16_64 0
		.amdhsa_float_denorm_mode_32 3
		.amdhsa_float_denorm_mode_16_64 3
		.amdhsa_dx10_clamp 1
		.amdhsa_ieee_mode 1
		.amdhsa_fp16_overflow 0
		.amdhsa_workgroup_processor_mode 1
		.amdhsa_memory_ordered 1
		.amdhsa_forward_progress 0
		.amdhsa_shared_vgpr_count 0
		.amdhsa_exception_fp_ieee_invalid_op 0
		.amdhsa_exception_fp_denorm_src 0
		.amdhsa_exception_fp_ieee_div_zero 0
		.amdhsa_exception_fp_ieee_overflow 0
		.amdhsa_exception_fp_ieee_underflow 0
		.amdhsa_exception_fp_ieee_inexact 0
		.amdhsa_exception_int_div_zero 0
	.end_amdhsa_kernel
	.section	.text._ZN9rocsparseL22gebsrmvn_mxn_16_kernelILj104ELj13ELj8EfEEvi20rocsparse_direction_NS_24const_host_device_scalarIT2_EEPKiS6_PKS3_iiS8_S4_PS3_21rocsparse_index_base_b,"axG",@progbits,_ZN9rocsparseL22gebsrmvn_mxn_16_kernelILj104ELj13ELj8EfEEvi20rocsparse_direction_NS_24const_host_device_scalarIT2_EEPKiS6_PKS3_iiS8_S4_PS3_21rocsparse_index_base_b,comdat
.Lfunc_end7:
	.size	_ZN9rocsparseL22gebsrmvn_mxn_16_kernelILj104ELj13ELj8EfEEvi20rocsparse_direction_NS_24const_host_device_scalarIT2_EEPKiS6_PKS3_iiS8_S4_PS3_21rocsparse_index_base_b, .Lfunc_end7-_ZN9rocsparseL22gebsrmvn_mxn_16_kernelILj104ELj13ELj8EfEEvi20rocsparse_direction_NS_24const_host_device_scalarIT2_EEPKiS6_PKS3_iiS8_S4_PS3_21rocsparse_index_base_b
                                        ; -- End function
	.section	.AMDGPU.csdata,"",@progbits
; Kernel info:
; codeLenInByte = 1172
; NumSgprs: 20
; NumVgprs: 11
; ScratchSize: 0
; MemoryBound: 0
; FloatMode: 240
; IeeeMode: 1
; LDSByteSize: 416 bytes/workgroup (compile time only)
; SGPRBlocks: 2
; VGPRBlocks: 1
; NumSGPRsForWavesPerEU: 20
; NumVGPRsForWavesPerEU: 11
; Occupancy: 16
; WaveLimiterHint : 1
; COMPUTE_PGM_RSRC2:SCRATCH_EN: 0
; COMPUTE_PGM_RSRC2:USER_SGPR: 15
; COMPUTE_PGM_RSRC2:TRAP_HANDLER: 0
; COMPUTE_PGM_RSRC2:TGID_X_EN: 1
; COMPUTE_PGM_RSRC2:TGID_Y_EN: 0
; COMPUTE_PGM_RSRC2:TGID_Z_EN: 0
; COMPUTE_PGM_RSRC2:TIDIG_COMP_CNT: 0
	.section	.text._ZN9rocsparseL23gebsrmvn_general_kernelILj256ELj16EfEEvi20rocsparse_direction_NS_24const_host_device_scalarIT1_EEPKiS6_PKS3_iiS8_S4_PS3_21rocsparse_index_base_b,"axG",@progbits,_ZN9rocsparseL23gebsrmvn_general_kernelILj256ELj16EfEEvi20rocsparse_direction_NS_24const_host_device_scalarIT1_EEPKiS6_PKS3_iiS8_S4_PS3_21rocsparse_index_base_b,comdat
	.globl	_ZN9rocsparseL23gebsrmvn_general_kernelILj256ELj16EfEEvi20rocsparse_direction_NS_24const_host_device_scalarIT1_EEPKiS6_PKS3_iiS8_S4_PS3_21rocsparse_index_base_b ; -- Begin function _ZN9rocsparseL23gebsrmvn_general_kernelILj256ELj16EfEEvi20rocsparse_direction_NS_24const_host_device_scalarIT1_EEPKiS6_PKS3_iiS8_S4_PS3_21rocsparse_index_base_b
	.p2align	8
	.type	_ZN9rocsparseL23gebsrmvn_general_kernelILj256ELj16EfEEvi20rocsparse_direction_NS_24const_host_device_scalarIT1_EEPKiS6_PKS3_iiS8_S4_PS3_21rocsparse_index_base_b,@function
_ZN9rocsparseL23gebsrmvn_general_kernelILj256ELj16EfEEvi20rocsparse_direction_NS_24const_host_device_scalarIT1_EEPKiS6_PKS3_iiS8_S4_PS3_21rocsparse_index_base_b: ; @_ZN9rocsparseL23gebsrmvn_general_kernelILj256ELj16EfEEvi20rocsparse_direction_NS_24const_host_device_scalarIT1_EEPKiS6_PKS3_iiS8_S4_PS3_21rocsparse_index_base_b
; %bb.0:
	s_clause 0x2
	s_load_b64 s[2:3], s[0:1], 0x48
	s_load_b64 s[8:9], s[0:1], 0x8
	;; [unrolled: 1-line block ×3, first 2 shown]
	s_mov_b32 s18, s15
	s_waitcnt lgkmcnt(0)
	s_bitcmp1_b32 s3, 0
	s_cselect_b32 s3, -1, 0
	s_delay_alu instid0(SALU_CYCLE_1)
	s_and_b32 vcc_lo, exec_lo, s3
	s_xor_b32 s3, s3, -1
	s_cbranch_vccnz .LBB8_2
; %bb.1:
	s_load_b32 s8, s[8:9], 0x0
.LBB8_2:
	s_and_not1_b32 vcc_lo, exec_lo, s3
	s_cbranch_vccnz .LBB8_4
; %bb.3:
	s_load_b32 s10, s[10:11], 0x0
.LBB8_4:
	s_waitcnt lgkmcnt(0)
	v_cmp_eq_f32_e64 s3, s8, 0
	v_cmp_eq_f32_e64 s4, s10, 1.0
	s_delay_alu instid0(VALU_DEP_1) | instskip(NEXT) | instid1(SALU_CYCLE_1)
	s_and_b32 s3, s3, s4
	s_and_b32 vcc_lo, exec_lo, s3
	s_cbranch_vccnz .LBB8_24
; %bb.5:
	s_load_b64 s[12:13], s[0:1], 0x28
	v_lshrrev_b32_e32 v1, 4, v0
	s_mov_b32 s3, exec_lo
	s_waitcnt lgkmcnt(0)
	s_delay_alu instid0(VALU_DEP_1)
	v_cmpx_gt_i32_e64 s12, v1
	s_cbranch_execz .LBB8_24
; %bb.6:
	s_load_b128 s[4:7], s[0:1], 0x10
	s_ashr_i32 s19, s18, 31
	v_mbcnt_lo_u32_b32 v4, -1, 0
	s_lshl_b64 s[14:15], s[18:19], 2
	s_load_b32 s19, s[0:1], 0x4
	v_cmp_eq_f32_e64 s22, s10, 0
	s_mov_b32 s3, 0
	v_xor_b32_e32 v2, 8, v4
	v_xor_b32_e32 v3, 4, v4
	;; [unrolled: 1-line block ×4, first 2 shown]
	s_mul_i32 s23, s18, s12
	v_cmp_gt_i32_e32 vcc_lo, 32, v2
	v_and_b32_e32 v0, 15, v0
	s_mul_i32 s25, s13, s12
	v_cndmask_b32_e32 v7, v4, v2, vcc_lo
	v_cmp_gt_i32_e32 vcc_lo, 32, v3
	s_waitcnt lgkmcnt(0)
	s_add_u32 s4, s4, s14
	s_addc_u32 s5, s5, s15
	v_cndmask_b32_e32 v8, v4, v3, vcc_lo
	s_load_b64 s[20:21], s[4:5], 0x0
	s_clause 0x2
	s_load_b64 s[4:5], s[0:1], 0x20
	s_load_b64 s[14:15], s[0:1], 0x30
	;; [unrolled: 1-line block ×3, first 2 shown]
	v_cmp_gt_i32_e32 vcc_lo, 32, v5
	v_cmp_gt_i32_e64 s0, s13, v0
	v_cmp_eq_u32_e64 s1, 15, v0
	v_cndmask_b32_e32 v9, v4, v5, vcc_lo
	v_cmp_gt_i32_e32 vcc_lo, 32, v6
	v_lshlrev_b32_e32 v5, 2, v8
	s_waitcnt lgkmcnt(0)
	s_sub_i32 s9, s20, s2
	s_sub_i32 s11, s21, s2
	v_mad_u64_u32 v[2:3], null, s12, s9, v[1:2]
	v_cndmask_b32_e32 v3, v4, v6, vcc_lo
	s_cmp_lt_i32 s20, s21
	v_lshlrev_b32_e32 v4, 2, v7
	v_lshlrev_b32_e32 v6, 2, v9
	s_cselect_b32 s20, -1, 0
	v_lshlrev_b32_e32 v7, 2, v3
	v_mul_lo_u32 v8, s13, v2
	s_cmp_lg_u32 s19, 0
	s_cselect_b32 s21, -1, 0
	s_lshl_b32 s24, s13, 4
	s_branch .LBB8_8
.LBB8_7:                                ;   in Loop: Header=BB8_8 Depth=1
	s_or_b32 exec_lo, exec_lo, s18
	v_add_nc_u32_e32 v1, 16, v1
	v_add_nc_u32_e32 v8, s24, v8
	s_delay_alu instid0(VALU_DEP_2) | instskip(SKIP_1) | instid1(SALU_CYCLE_1)
	v_cmp_le_i32_e32 vcc_lo, s12, v1
	s_or_b32 s3, vcc_lo, s3
	s_and_not1_b32 exec_lo, exec_lo, s3
	s_cbranch_execz .LBB8_24
.LBB8_8:                                ; =>This Loop Header: Depth=1
                                        ;     Child Loop BB8_12 Depth 2
                                        ;       Child Loop BB8_15 Depth 3
	v_mov_b32_e32 v9, 0
	s_and_not1_b32 vcc_lo, exec_lo, s20
	s_cbranch_vccnz .LBB8_19
; %bb.9:                                ;   in Loop: Header=BB8_8 Depth=1
	v_dual_mov_b32 v9, 0 :: v_dual_mov_b32 v10, v8
	s_mov_b32 s18, s9
	s_branch .LBB8_12
.LBB8_10:                               ;   in Loop: Header=BB8_12 Depth=2
	s_set_inst_prefetch_distance 0x2
	s_or_b32 exec_lo, exec_lo, s27
.LBB8_11:                               ;   in Loop: Header=BB8_12 Depth=2
	s_delay_alu instid0(SALU_CYCLE_1) | instskip(SKIP_2) | instid1(SALU_CYCLE_1)
	s_or_b32 exec_lo, exec_lo, s26
	v_add_nc_u32_e32 v10, s25, v10
	s_add_i32 s18, s18, 1
	s_cmp_ge_i32 s18, s11
	s_cbranch_scc1 .LBB8_19
.LBB8_12:                               ;   Parent Loop BB8_8 Depth=1
                                        ; =>  This Loop Header: Depth=2
                                        ;       Child Loop BB8_15 Depth 3
	s_and_saveexec_b32 s26, s0
	s_cbranch_execz .LBB8_11
; %bb.13:                               ;   in Loop: Header=BB8_12 Depth=2
	s_ashr_i32 s19, s18, 31
	v_mov_b32_e32 v11, v0
	s_lshl_b64 s[28:29], s[18:19], 2
	s_mov_b32 s27, 0
	s_add_u32 s28, s6, s28
	s_addc_u32 s29, s7, s29
	s_load_b32 s19, s[28:29], 0x0
	s_waitcnt lgkmcnt(0)
	s_sub_i32 s28, s19, s2
	s_mul_i32 s19, s18, s13
	s_mul_i32 s28, s28, s13
	s_set_inst_prefetch_distance 0x1
	s_branch .LBB8_15
	.p2align	6
.LBB8_14:                               ;   in Loop: Header=BB8_15 Depth=3
	v_add_nc_u32_e32 v12, s28, v11
	s_delay_alu instid0(VALU_DEP_2) | instskip(SKIP_1) | instid1(VALU_DEP_3)
	v_ashrrev_i32_e32 v3, 31, v2
	v_add_nc_u32_e32 v11, 16, v11
	v_ashrrev_i32_e32 v13, 31, v12
	s_delay_alu instid0(VALU_DEP_3) | instskip(NEXT) | instid1(VALU_DEP_2)
	v_lshlrev_b64 v[2:3], 2, v[2:3]
	v_lshlrev_b64 v[12:13], 2, v[12:13]
	s_delay_alu instid0(VALU_DEP_2) | instskip(NEXT) | instid1(VALU_DEP_3)
	v_add_co_u32 v2, vcc_lo, s4, v2
	v_add_co_ci_u32_e32 v3, vcc_lo, s5, v3, vcc_lo
	s_delay_alu instid0(VALU_DEP_3) | instskip(NEXT) | instid1(VALU_DEP_4)
	v_add_co_u32 v12, vcc_lo, s14, v12
	v_add_co_ci_u32_e32 v13, vcc_lo, s15, v13, vcc_lo
	v_cmp_le_i32_e32 vcc_lo, s13, v11
	global_load_b32 v2, v[2:3], off
	global_load_b32 v3, v[12:13], off
	s_or_b32 s27, vcc_lo, s27
	s_waitcnt vmcnt(0)
	v_fmac_f32_e32 v9, v2, v3
	s_and_not1_b32 exec_lo, exec_lo, s27
	s_cbranch_execz .LBB8_10
.LBB8_15:                               ;   Parent Loop BB8_8 Depth=1
                                        ;     Parent Loop BB8_12 Depth=2
                                        ; =>    This Inner Loop Header: Depth=3
	s_and_b32 vcc_lo, exec_lo, s21
	s_cbranch_vccz .LBB8_17
; %bb.16:                               ;   in Loop: Header=BB8_15 Depth=3
	v_add_nc_u32_e32 v12, s19, v11
	s_delay_alu instid0(VALU_DEP_1)
	v_mad_u64_u32 v[2:3], null, v12, s12, v[1:2]
	s_cbranch_execnz .LBB8_14
	s_branch .LBB8_18
	.p2align	6
.LBB8_17:                               ;   in Loop: Header=BB8_15 Depth=3
                                        ; implicit-def: $vgpr2
.LBB8_18:                               ;   in Loop: Header=BB8_15 Depth=3
	v_add_nc_u32_e32 v2, v10, v11
	s_branch .LBB8_14
.LBB8_19:                               ;   in Loop: Header=BB8_8 Depth=1
	ds_bpermute_b32 v2, v4, v9
	s_waitcnt lgkmcnt(0)
	v_add_f32_e32 v2, v9, v2
	ds_bpermute_b32 v3, v5, v2
	s_waitcnt lgkmcnt(0)
	v_add_f32_e32 v2, v2, v3
	;; [unrolled: 3-line block ×3, first 2 shown]
	ds_bpermute_b32 v3, v7, v2
	s_and_saveexec_b32 s18, s1
	s_cbranch_execz .LBB8_7
; %bb.20:                               ;   in Loop: Header=BB8_8 Depth=1
	s_waitcnt lgkmcnt(0)
	v_dual_add_f32 v3, v2, v3 :: v_dual_add_nc_u32 v2, s23, v1
	s_and_b32 vcc_lo, exec_lo, s22
	s_delay_alu instid0(VALU_DEP_1) | instskip(NEXT) | instid1(VALU_DEP_2)
	v_mul_f32_e32 v9, s8, v3
	v_ashrrev_i32_e32 v3, 31, v2
	s_cbranch_vccz .LBB8_22
; %bb.21:                               ;   in Loop: Header=BB8_8 Depth=1
	s_delay_alu instid0(VALU_DEP_1) | instskip(NEXT) | instid1(VALU_DEP_1)
	v_lshlrev_b64 v[10:11], 2, v[2:3]
	v_add_co_u32 v10, vcc_lo, s16, v10
	s_delay_alu instid0(VALU_DEP_2)
	v_add_co_ci_u32_e32 v11, vcc_lo, s17, v11, vcc_lo
	global_store_b32 v[10:11], v9, off
	s_cbranch_execnz .LBB8_7
	s_branch .LBB8_23
.LBB8_22:                               ;   in Loop: Header=BB8_8 Depth=1
.LBB8_23:                               ;   in Loop: Header=BB8_8 Depth=1
	s_delay_alu instid0(VALU_DEP_1) | instskip(NEXT) | instid1(VALU_DEP_1)
	v_lshlrev_b64 v[2:3], 2, v[2:3]
	v_add_co_u32 v2, vcc_lo, s16, v2
	s_delay_alu instid0(VALU_DEP_2)
	v_add_co_ci_u32_e32 v3, vcc_lo, s17, v3, vcc_lo
	global_load_b32 v10, v[2:3], off
	s_waitcnt vmcnt(0)
	v_fmac_f32_e32 v9, s10, v10
	global_store_b32 v[2:3], v9, off
	s_branch .LBB8_7
.LBB8_24:
	s_nop 0
	s_sendmsg sendmsg(MSG_DEALLOC_VGPRS)
	s_endpgm
	.section	.rodata,"a",@progbits
	.p2align	6, 0x0
	.amdhsa_kernel _ZN9rocsparseL23gebsrmvn_general_kernelILj256ELj16EfEEvi20rocsparse_direction_NS_24const_host_device_scalarIT1_EEPKiS6_PKS3_iiS8_S4_PS3_21rocsparse_index_base_b
		.amdhsa_group_segment_fixed_size 0
		.amdhsa_private_segment_fixed_size 0
		.amdhsa_kernarg_size 80
		.amdhsa_user_sgpr_count 15
		.amdhsa_user_sgpr_dispatch_ptr 0
		.amdhsa_user_sgpr_queue_ptr 0
		.amdhsa_user_sgpr_kernarg_segment_ptr 1
		.amdhsa_user_sgpr_dispatch_id 0
		.amdhsa_user_sgpr_private_segment_size 0
		.amdhsa_wavefront_size32 1
		.amdhsa_uses_dynamic_stack 0
		.amdhsa_enable_private_segment 0
		.amdhsa_system_sgpr_workgroup_id_x 1
		.amdhsa_system_sgpr_workgroup_id_y 0
		.amdhsa_system_sgpr_workgroup_id_z 0
		.amdhsa_system_sgpr_workgroup_info 0
		.amdhsa_system_vgpr_workitem_id 0
		.amdhsa_next_free_vgpr 14
		.amdhsa_next_free_sgpr 30
		.amdhsa_reserve_vcc 1
		.amdhsa_float_round_mode_32 0
		.amdhsa_float_round_mode_16_64 0
		.amdhsa_float_denorm_mode_32 3
		.amdhsa_float_denorm_mode_16_64 3
		.amdhsa_dx10_clamp 1
		.amdhsa_ieee_mode 1
		.amdhsa_fp16_overflow 0
		.amdhsa_workgroup_processor_mode 1
		.amdhsa_memory_ordered 1
		.amdhsa_forward_progress 0
		.amdhsa_shared_vgpr_count 0
		.amdhsa_exception_fp_ieee_invalid_op 0
		.amdhsa_exception_fp_denorm_src 0
		.amdhsa_exception_fp_ieee_div_zero 0
		.amdhsa_exception_fp_ieee_overflow 0
		.amdhsa_exception_fp_ieee_underflow 0
		.amdhsa_exception_fp_ieee_inexact 0
		.amdhsa_exception_int_div_zero 0
	.end_amdhsa_kernel
	.section	.text._ZN9rocsparseL23gebsrmvn_general_kernelILj256ELj16EfEEvi20rocsparse_direction_NS_24const_host_device_scalarIT1_EEPKiS6_PKS3_iiS8_S4_PS3_21rocsparse_index_base_b,"axG",@progbits,_ZN9rocsparseL23gebsrmvn_general_kernelILj256ELj16EfEEvi20rocsparse_direction_NS_24const_host_device_scalarIT1_EEPKiS6_PKS3_iiS8_S4_PS3_21rocsparse_index_base_b,comdat
.Lfunc_end8:
	.size	_ZN9rocsparseL23gebsrmvn_general_kernelILj256ELj16EfEEvi20rocsparse_direction_NS_24const_host_device_scalarIT1_EEPKiS6_PKS3_iiS8_S4_PS3_21rocsparse_index_base_b, .Lfunc_end8-_ZN9rocsparseL23gebsrmvn_general_kernelILj256ELj16EfEEvi20rocsparse_direction_NS_24const_host_device_scalarIT1_EEPKiS6_PKS3_iiS8_S4_PS3_21rocsparse_index_base_b
                                        ; -- End function
	.section	.AMDGPU.csdata,"",@progbits
; Kernel info:
; codeLenInByte = 908
; NumSgprs: 32
; NumVgprs: 14
; ScratchSize: 0
; MemoryBound: 0
; FloatMode: 240
; IeeeMode: 1
; LDSByteSize: 0 bytes/workgroup (compile time only)
; SGPRBlocks: 3
; VGPRBlocks: 1
; NumSGPRsForWavesPerEU: 32
; NumVGPRsForWavesPerEU: 14
; Occupancy: 16
; WaveLimiterHint : 1
; COMPUTE_PGM_RSRC2:SCRATCH_EN: 0
; COMPUTE_PGM_RSRC2:USER_SGPR: 15
; COMPUTE_PGM_RSRC2:TRAP_HANDLER: 0
; COMPUTE_PGM_RSRC2:TGID_X_EN: 1
; COMPUTE_PGM_RSRC2:TGID_Y_EN: 0
; COMPUTE_PGM_RSRC2:TGID_Z_EN: 0
; COMPUTE_PGM_RSRC2:TIDIG_COMP_CNT: 0
	.section	.text._ZN9rocsparseL23gebsrmvn_general_kernelILj512ELj32EfEEvi20rocsparse_direction_NS_24const_host_device_scalarIT1_EEPKiS6_PKS3_iiS8_S4_PS3_21rocsparse_index_base_b,"axG",@progbits,_ZN9rocsparseL23gebsrmvn_general_kernelILj512ELj32EfEEvi20rocsparse_direction_NS_24const_host_device_scalarIT1_EEPKiS6_PKS3_iiS8_S4_PS3_21rocsparse_index_base_b,comdat
	.globl	_ZN9rocsparseL23gebsrmvn_general_kernelILj512ELj32EfEEvi20rocsparse_direction_NS_24const_host_device_scalarIT1_EEPKiS6_PKS3_iiS8_S4_PS3_21rocsparse_index_base_b ; -- Begin function _ZN9rocsparseL23gebsrmvn_general_kernelILj512ELj32EfEEvi20rocsparse_direction_NS_24const_host_device_scalarIT1_EEPKiS6_PKS3_iiS8_S4_PS3_21rocsparse_index_base_b
	.p2align	8
	.type	_ZN9rocsparseL23gebsrmvn_general_kernelILj512ELj32EfEEvi20rocsparse_direction_NS_24const_host_device_scalarIT1_EEPKiS6_PKS3_iiS8_S4_PS3_21rocsparse_index_base_b,@function
_ZN9rocsparseL23gebsrmvn_general_kernelILj512ELj32EfEEvi20rocsparse_direction_NS_24const_host_device_scalarIT1_EEPKiS6_PKS3_iiS8_S4_PS3_21rocsparse_index_base_b: ; @_ZN9rocsparseL23gebsrmvn_general_kernelILj512ELj32EfEEvi20rocsparse_direction_NS_24const_host_device_scalarIT1_EEPKiS6_PKS3_iiS8_S4_PS3_21rocsparse_index_base_b
; %bb.0:
	s_clause 0x2
	s_load_b64 s[2:3], s[0:1], 0x48
	s_load_b64 s[8:9], s[0:1], 0x8
	;; [unrolled: 1-line block ×3, first 2 shown]
	s_mov_b32 s18, s15
	s_waitcnt lgkmcnt(0)
	s_bitcmp1_b32 s3, 0
	s_cselect_b32 s3, -1, 0
	s_delay_alu instid0(SALU_CYCLE_1)
	s_and_b32 vcc_lo, exec_lo, s3
	s_xor_b32 s3, s3, -1
	s_cbranch_vccnz .LBB9_2
; %bb.1:
	s_load_b32 s8, s[8:9], 0x0
.LBB9_2:
	s_and_not1_b32 vcc_lo, exec_lo, s3
	s_cbranch_vccnz .LBB9_4
; %bb.3:
	s_load_b32 s10, s[10:11], 0x0
.LBB9_4:
	s_waitcnt lgkmcnt(0)
	v_cmp_eq_f32_e64 s3, s8, 0
	v_cmp_eq_f32_e64 s4, s10, 1.0
	s_delay_alu instid0(VALU_DEP_1) | instskip(NEXT) | instid1(SALU_CYCLE_1)
	s_and_b32 s3, s3, s4
	s_and_b32 vcc_lo, exec_lo, s3
	s_cbranch_vccnz .LBB9_24
; %bb.5:
	s_load_b64 s[12:13], s[0:1], 0x28
	v_lshrrev_b32_e32 v1, 5, v0
	s_mov_b32 s3, exec_lo
	s_waitcnt lgkmcnt(0)
	s_delay_alu instid0(VALU_DEP_1)
	v_cmpx_gt_i32_e64 s12, v1
	s_cbranch_execz .LBB9_24
; %bb.6:
	s_load_b128 s[4:7], s[0:1], 0x10
	s_ashr_i32 s19, s18, 31
	v_mbcnt_lo_u32_b32 v4, -1, 0
	s_lshl_b64 s[14:15], s[18:19], 2
	s_load_b32 s19, s[0:1], 0x4
	v_cmp_eq_f32_e64 s22, s10, 0
	s_mov_b32 s3, 0
	v_xor_b32_e32 v2, 16, v4
	v_xor_b32_e32 v3, 8, v4
	;; [unrolled: 1-line block ×5, first 2 shown]
	v_cmp_gt_i32_e32 vcc_lo, 32, v2
	s_mul_i32 s23, s18, s12
	s_mul_i32 s25, s13, s12
	v_cndmask_b32_e32 v8, v4, v2, vcc_lo
	v_cmp_gt_i32_e32 vcc_lo, 32, v3
	v_and_b32_e32 v0, 31, v0
	s_waitcnt lgkmcnt(0)
	s_add_u32 s4, s4, s14
	s_addc_u32 s5, s5, s15
	v_cndmask_b32_e32 v9, v4, v3, vcc_lo
	s_load_b64 s[20:21], s[4:5], 0x0
	v_cmp_gt_i32_e32 vcc_lo, 32, v5
	s_clause 0x2
	s_load_b64 s[4:5], s[0:1], 0x20
	s_load_b64 s[14:15], s[0:1], 0x30
	;; [unrolled: 1-line block ×3, first 2 shown]
	v_cmp_gt_i32_e64 s0, s13, v0
	v_cmp_eq_u32_e64 s1, 31, v0
	v_cndmask_b32_e32 v10, v4, v5, vcc_lo
	v_cmp_gt_i32_e32 vcc_lo, 32, v6
	v_lshlrev_b32_e32 v5, 2, v9
	v_cndmask_b32_e32 v11, v4, v6, vcc_lo
	v_cmp_gt_i32_e32 vcc_lo, 32, v7
	s_waitcnt lgkmcnt(0)
	s_sub_i32 s9, s20, s2
	s_sub_i32 s11, s21, s2
	v_mad_u64_u32 v[2:3], null, s12, s9, v[1:2]
	v_cndmask_b32_e32 v3, v4, v7, vcc_lo
	s_cmp_lt_i32 s20, s21
	v_lshlrev_b32_e32 v4, 2, v8
	v_lshlrev_b32_e32 v7, 2, v11
	;; [unrolled: 1-line block ×4, first 2 shown]
	v_mul_lo_u32 v9, s13, v2
	s_cselect_b32 s20, -1, 0
	s_cmp_lg_u32 s19, 0
	s_cselect_b32 s21, -1, 0
	s_lshl_b32 s24, s13, 4
	s_branch .LBB9_8
.LBB9_7:                                ;   in Loop: Header=BB9_8 Depth=1
	s_or_b32 exec_lo, exec_lo, s18
	v_add_nc_u32_e32 v1, 16, v1
	v_add_nc_u32_e32 v9, s24, v9
	s_delay_alu instid0(VALU_DEP_2) | instskip(SKIP_1) | instid1(SALU_CYCLE_1)
	v_cmp_le_i32_e32 vcc_lo, s12, v1
	s_or_b32 s3, vcc_lo, s3
	s_and_not1_b32 exec_lo, exec_lo, s3
	s_cbranch_execz .LBB9_24
.LBB9_8:                                ; =>This Loop Header: Depth=1
                                        ;     Child Loop BB9_12 Depth 2
                                        ;       Child Loop BB9_15 Depth 3
	v_mov_b32_e32 v10, 0
	s_and_not1_b32 vcc_lo, exec_lo, s20
	s_cbranch_vccnz .LBB9_19
; %bb.9:                                ;   in Loop: Header=BB9_8 Depth=1
	v_dual_mov_b32 v10, 0 :: v_dual_mov_b32 v11, v9
	s_mov_b32 s18, s9
	s_branch .LBB9_12
.LBB9_10:                               ;   in Loop: Header=BB9_12 Depth=2
	s_set_inst_prefetch_distance 0x2
	s_or_b32 exec_lo, exec_lo, s27
.LBB9_11:                               ;   in Loop: Header=BB9_12 Depth=2
	s_delay_alu instid0(SALU_CYCLE_1) | instskip(SKIP_2) | instid1(SALU_CYCLE_1)
	s_or_b32 exec_lo, exec_lo, s26
	v_add_nc_u32_e32 v11, s25, v11
	s_add_i32 s18, s18, 1
	s_cmp_ge_i32 s18, s11
	s_cbranch_scc1 .LBB9_19
.LBB9_12:                               ;   Parent Loop BB9_8 Depth=1
                                        ; =>  This Loop Header: Depth=2
                                        ;       Child Loop BB9_15 Depth 3
	s_and_saveexec_b32 s26, s0
	s_cbranch_execz .LBB9_11
; %bb.13:                               ;   in Loop: Header=BB9_12 Depth=2
	s_ashr_i32 s19, s18, 31
	v_mov_b32_e32 v12, v0
	s_lshl_b64 s[28:29], s[18:19], 2
	s_mov_b32 s27, 0
	s_add_u32 s28, s6, s28
	s_addc_u32 s29, s7, s29
	s_load_b32 s19, s[28:29], 0x0
	s_waitcnt lgkmcnt(0)
	s_sub_i32 s28, s19, s2
	s_mul_i32 s19, s18, s13
	s_mul_i32 s28, s28, s13
	s_set_inst_prefetch_distance 0x1
	s_branch .LBB9_15
	.p2align	6
.LBB9_14:                               ;   in Loop: Header=BB9_15 Depth=3
	v_add_nc_u32_e32 v13, s28, v12
	s_delay_alu instid0(VALU_DEP_2) | instskip(SKIP_1) | instid1(VALU_DEP_3)
	v_ashrrev_i32_e32 v3, 31, v2
	v_add_nc_u32_e32 v12, 32, v12
	v_ashrrev_i32_e32 v14, 31, v13
	s_delay_alu instid0(VALU_DEP_3) | instskip(NEXT) | instid1(VALU_DEP_2)
	v_lshlrev_b64 v[2:3], 2, v[2:3]
	v_lshlrev_b64 v[13:14], 2, v[13:14]
	s_delay_alu instid0(VALU_DEP_2) | instskip(NEXT) | instid1(VALU_DEP_3)
	v_add_co_u32 v2, vcc_lo, s4, v2
	v_add_co_ci_u32_e32 v3, vcc_lo, s5, v3, vcc_lo
	s_delay_alu instid0(VALU_DEP_3) | instskip(NEXT) | instid1(VALU_DEP_4)
	v_add_co_u32 v13, vcc_lo, s14, v13
	v_add_co_ci_u32_e32 v14, vcc_lo, s15, v14, vcc_lo
	v_cmp_le_i32_e32 vcc_lo, s13, v12
	global_load_b32 v2, v[2:3], off
	global_load_b32 v3, v[13:14], off
	s_or_b32 s27, vcc_lo, s27
	s_waitcnt vmcnt(0)
	v_fmac_f32_e32 v10, v2, v3
	s_and_not1_b32 exec_lo, exec_lo, s27
	s_cbranch_execz .LBB9_10
.LBB9_15:                               ;   Parent Loop BB9_8 Depth=1
                                        ;     Parent Loop BB9_12 Depth=2
                                        ; =>    This Inner Loop Header: Depth=3
	s_and_b32 vcc_lo, exec_lo, s21
	s_cbranch_vccz .LBB9_17
; %bb.16:                               ;   in Loop: Header=BB9_15 Depth=3
	v_add_nc_u32_e32 v13, s19, v12
	s_delay_alu instid0(VALU_DEP_1)
	v_mad_u64_u32 v[2:3], null, v13, s12, v[1:2]
	s_cbranch_execnz .LBB9_14
	s_branch .LBB9_18
	.p2align	6
.LBB9_17:                               ;   in Loop: Header=BB9_15 Depth=3
                                        ; implicit-def: $vgpr2
.LBB9_18:                               ;   in Loop: Header=BB9_15 Depth=3
	v_add_nc_u32_e32 v2, v11, v12
	s_branch .LBB9_14
.LBB9_19:                               ;   in Loop: Header=BB9_8 Depth=1
	ds_bpermute_b32 v2, v4, v10
	s_waitcnt lgkmcnt(0)
	v_add_f32_e32 v2, v10, v2
	ds_bpermute_b32 v3, v5, v2
	s_waitcnt lgkmcnt(0)
	v_add_f32_e32 v2, v2, v3
	;; [unrolled: 3-line block ×4, first 2 shown]
	ds_bpermute_b32 v3, v8, v2
	s_and_saveexec_b32 s18, s1
	s_cbranch_execz .LBB9_7
; %bb.20:                               ;   in Loop: Header=BB9_8 Depth=1
	s_waitcnt lgkmcnt(0)
	v_dual_add_f32 v3, v2, v3 :: v_dual_add_nc_u32 v2, s23, v1
	s_and_b32 vcc_lo, exec_lo, s22
	s_delay_alu instid0(VALU_DEP_1) | instskip(NEXT) | instid1(VALU_DEP_2)
	v_mul_f32_e32 v10, s8, v3
	v_ashrrev_i32_e32 v3, 31, v2
	s_cbranch_vccz .LBB9_22
; %bb.21:                               ;   in Loop: Header=BB9_8 Depth=1
	s_delay_alu instid0(VALU_DEP_1) | instskip(NEXT) | instid1(VALU_DEP_1)
	v_lshlrev_b64 v[11:12], 2, v[2:3]
	v_add_co_u32 v11, vcc_lo, s16, v11
	s_delay_alu instid0(VALU_DEP_2)
	v_add_co_ci_u32_e32 v12, vcc_lo, s17, v12, vcc_lo
	global_store_b32 v[11:12], v10, off
	s_cbranch_execnz .LBB9_7
	s_branch .LBB9_23
.LBB9_22:                               ;   in Loop: Header=BB9_8 Depth=1
.LBB9_23:                               ;   in Loop: Header=BB9_8 Depth=1
	s_delay_alu instid0(VALU_DEP_1) | instskip(NEXT) | instid1(VALU_DEP_1)
	v_lshlrev_b64 v[2:3], 2, v[2:3]
	v_add_co_u32 v2, vcc_lo, s16, v2
	s_delay_alu instid0(VALU_DEP_2)
	v_add_co_ci_u32_e32 v3, vcc_lo, s17, v3, vcc_lo
	global_load_b32 v11, v[2:3], off
	s_waitcnt vmcnt(0)
	v_fmac_f32_e32 v10, s10, v11
	global_store_b32 v[2:3], v10, off
	s_branch .LBB9_7
.LBB9_24:
	s_nop 0
	s_sendmsg sendmsg(MSG_DEALLOC_VGPRS)
	s_endpgm
	.section	.rodata,"a",@progbits
	.p2align	6, 0x0
	.amdhsa_kernel _ZN9rocsparseL23gebsrmvn_general_kernelILj512ELj32EfEEvi20rocsparse_direction_NS_24const_host_device_scalarIT1_EEPKiS6_PKS3_iiS8_S4_PS3_21rocsparse_index_base_b
		.amdhsa_group_segment_fixed_size 0
		.amdhsa_private_segment_fixed_size 0
		.amdhsa_kernarg_size 80
		.amdhsa_user_sgpr_count 15
		.amdhsa_user_sgpr_dispatch_ptr 0
		.amdhsa_user_sgpr_queue_ptr 0
		.amdhsa_user_sgpr_kernarg_segment_ptr 1
		.amdhsa_user_sgpr_dispatch_id 0
		.amdhsa_user_sgpr_private_segment_size 0
		.amdhsa_wavefront_size32 1
		.amdhsa_uses_dynamic_stack 0
		.amdhsa_enable_private_segment 0
		.amdhsa_system_sgpr_workgroup_id_x 1
		.amdhsa_system_sgpr_workgroup_id_y 0
		.amdhsa_system_sgpr_workgroup_id_z 0
		.amdhsa_system_sgpr_workgroup_info 0
		.amdhsa_system_vgpr_workitem_id 0
		.amdhsa_next_free_vgpr 15
		.amdhsa_next_free_sgpr 30
		.amdhsa_reserve_vcc 1
		.amdhsa_float_round_mode_32 0
		.amdhsa_float_round_mode_16_64 0
		.amdhsa_float_denorm_mode_32 3
		.amdhsa_float_denorm_mode_16_64 3
		.amdhsa_dx10_clamp 1
		.amdhsa_ieee_mode 1
		.amdhsa_fp16_overflow 0
		.amdhsa_workgroup_processor_mode 1
		.amdhsa_memory_ordered 1
		.amdhsa_forward_progress 0
		.amdhsa_shared_vgpr_count 0
		.amdhsa_exception_fp_ieee_invalid_op 0
		.amdhsa_exception_fp_denorm_src 0
		.amdhsa_exception_fp_ieee_div_zero 0
		.amdhsa_exception_fp_ieee_overflow 0
		.amdhsa_exception_fp_ieee_underflow 0
		.amdhsa_exception_fp_ieee_inexact 0
		.amdhsa_exception_int_div_zero 0
	.end_amdhsa_kernel
	.section	.text._ZN9rocsparseL23gebsrmvn_general_kernelILj512ELj32EfEEvi20rocsparse_direction_NS_24const_host_device_scalarIT1_EEPKiS6_PKS3_iiS8_S4_PS3_21rocsparse_index_base_b,"axG",@progbits,_ZN9rocsparseL23gebsrmvn_general_kernelILj512ELj32EfEEvi20rocsparse_direction_NS_24const_host_device_scalarIT1_EEPKiS6_PKS3_iiS8_S4_PS3_21rocsparse_index_base_b,comdat
.Lfunc_end9:
	.size	_ZN9rocsparseL23gebsrmvn_general_kernelILj512ELj32EfEEvi20rocsparse_direction_NS_24const_host_device_scalarIT1_EEPKiS6_PKS3_iiS8_S4_PS3_21rocsparse_index_base_b, .Lfunc_end9-_ZN9rocsparseL23gebsrmvn_general_kernelILj512ELj32EfEEvi20rocsparse_direction_NS_24const_host_device_scalarIT1_EEPKiS6_PKS3_iiS8_S4_PS3_21rocsparse_index_base_b
                                        ; -- End function
	.section	.AMDGPU.csdata,"",@progbits
; Kernel info:
; codeLenInByte = 940
; NumSgprs: 32
; NumVgprs: 15
; ScratchSize: 0
; MemoryBound: 0
; FloatMode: 240
; IeeeMode: 1
; LDSByteSize: 0 bytes/workgroup (compile time only)
; SGPRBlocks: 3
; VGPRBlocks: 1
; NumSGPRsForWavesPerEU: 32
; NumVGPRsForWavesPerEU: 15
; Occupancy: 16
; WaveLimiterHint : 1
; COMPUTE_PGM_RSRC2:SCRATCH_EN: 0
; COMPUTE_PGM_RSRC2:USER_SGPR: 15
; COMPUTE_PGM_RSRC2:TRAP_HANDLER: 0
; COMPUTE_PGM_RSRC2:TGID_X_EN: 1
; COMPUTE_PGM_RSRC2:TGID_Y_EN: 0
; COMPUTE_PGM_RSRC2:TGID_Z_EN: 0
; COMPUTE_PGM_RSRC2:TIDIG_COMP_CNT: 0
	.section	.text._ZN9rocsparseL22gebsrmvn_mxn_16_kernelILj56ELj14ELj1EfEEvi20rocsparse_direction_NS_24const_host_device_scalarIT2_EEPKiS6_PKS3_iiS8_S4_PS3_21rocsparse_index_base_b,"axG",@progbits,_ZN9rocsparseL22gebsrmvn_mxn_16_kernelILj56ELj14ELj1EfEEvi20rocsparse_direction_NS_24const_host_device_scalarIT2_EEPKiS6_PKS3_iiS8_S4_PS3_21rocsparse_index_base_b,comdat
	.globl	_ZN9rocsparseL22gebsrmvn_mxn_16_kernelILj56ELj14ELj1EfEEvi20rocsparse_direction_NS_24const_host_device_scalarIT2_EEPKiS6_PKS3_iiS8_S4_PS3_21rocsparse_index_base_b ; -- Begin function _ZN9rocsparseL22gebsrmvn_mxn_16_kernelILj56ELj14ELj1EfEEvi20rocsparse_direction_NS_24const_host_device_scalarIT2_EEPKiS6_PKS3_iiS8_S4_PS3_21rocsparse_index_base_b
	.p2align	8
	.type	_ZN9rocsparseL22gebsrmvn_mxn_16_kernelILj56ELj14ELj1EfEEvi20rocsparse_direction_NS_24const_host_device_scalarIT2_EEPKiS6_PKS3_iiS8_S4_PS3_21rocsparse_index_base_b,@function
_ZN9rocsparseL22gebsrmvn_mxn_16_kernelILj56ELj14ELj1EfEEvi20rocsparse_direction_NS_24const_host_device_scalarIT2_EEPKiS6_PKS3_iiS8_S4_PS3_21rocsparse_index_base_b: ; @_ZN9rocsparseL22gebsrmvn_mxn_16_kernelILj56ELj14ELj1EfEEvi20rocsparse_direction_NS_24const_host_device_scalarIT2_EEPKiS6_PKS3_iiS8_S4_PS3_21rocsparse_index_base_b
; %bb.0:
	s_mov_b32 s8, s15
	s_clause 0x2
	s_load_b64 s[14:15], s[0:1], 0x48
	s_load_b64 s[10:11], s[0:1], 0x8
	;; [unrolled: 1-line block ×3, first 2 shown]
	s_waitcnt lgkmcnt(0)
	s_bitcmp1_b32 s15, 0
	s_cselect_b32 s4, -1, 0
	s_delay_alu instid0(SALU_CYCLE_1)
	s_and_b32 vcc_lo, exec_lo, s4
	s_xor_b32 s4, s4, -1
	s_cbranch_vccnz .LBB10_2
; %bb.1:
	s_load_b32 s10, s[10:11], 0x0
.LBB10_2:
	s_and_not1_b32 vcc_lo, exec_lo, s4
	s_cbranch_vccnz .LBB10_4
; %bb.3:
	s_load_b32 s2, s[2:3], 0x0
.LBB10_4:
	s_waitcnt lgkmcnt(0)
	v_cmp_eq_f32_e64 s3, s10, 0
	v_cmp_eq_f32_e64 s4, s2, 1.0
	s_delay_alu instid0(VALU_DEP_1) | instskip(NEXT) | instid1(SALU_CYCLE_1)
	s_and_b32 s3, s3, s4
	s_and_b32 vcc_lo, exec_lo, s3
	s_cbranch_vccnz .LBB10_22
; %bb.5:
	s_load_b64 s[4:5], s[0:1], 0x10
	s_ashr_i32 s9, s8, 31
	s_delay_alu instid0(SALU_CYCLE_1)
	s_lshl_b64 s[6:7], s[8:9], 2
	s_waitcnt lgkmcnt(0)
	s_add_u32 s4, s4, s6
	s_addc_u32 s5, s5, s7
	s_load_b64 s[16:17], s[4:5], 0x0
	s_waitcnt lgkmcnt(0)
	s_cmp_lt_i32 s16, s17
	s_cbranch_scc1 .LBB10_7
; %bb.6:
	s_mov_b32 s4, 0
	s_load_b64 s[12:13], s[0:1], 0x40
	v_mov_b32_e32 v5, s4
	s_cbranch_execz .LBB10_8
	s_branch .LBB10_12
.LBB10_7:
                                        ; implicit-def: $sgpr4
	s_load_b64 s[12:13], s[0:1], 0x40
	v_mov_b32_e32 v5, s4
.LBB10_8:
	s_clause 0x1
	s_load_b128 s[4:7], s[0:1], 0x18
	s_load_b64 s[0:1], s[0:1], 0x30
	v_mad_u64_u32 v[1:2], null, s16, 14, v[0:1]
	v_mul_u32_u24_e32 v3, 0x124a, v0
	v_mov_b32_e32 v2, 0
	s_mul_i32 s3, s14, 14
	s_sub_i32 s9, s16, s14
	s_delay_alu instid0(VALU_DEP_2) | instskip(NEXT) | instid1(VALU_DEP_4)
	v_lshrrev_b32_e32 v6, 16, v3
	v_subrev_nc_u32_e32 v1, s3, v1
	v_mov_b32_e32 v5, v2
	s_sub_i32 s3, s17, s14
	s_set_inst_prefetch_distance 0x1
	s_branch .LBB10_10
	.p2align	6
.LBB10_9:                               ;   in Loop: Header=BB10_10 Depth=1
	s_or_b32 exec_lo, exec_lo, s11
	v_add_nc_u32_e32 v1, 56, v1
	s_add_i32 s9, s9, 4
	s_delay_alu instid0(SALU_CYCLE_1)
	s_cmp_ge_i32 s9, s3
	s_cbranch_scc1 .LBB10_12
.LBB10_10:                              ; =>This Inner Loop Header: Depth=1
	v_add_nc_u32_e32 v3, s9, v6
	s_mov_b32 s11, exec_lo
	s_delay_alu instid0(VALU_DEP_1)
	v_cmpx_gt_i32_e64 s3, v3
	s_cbranch_execz .LBB10_9
; %bb.11:                               ;   in Loop: Header=BB10_10 Depth=1
	v_ashrrev_i32_e32 v4, 31, v3
	v_lshlrev_b64 v[7:8], 2, v[1:2]
	s_delay_alu instid0(VALU_DEP_2) | instskip(SKIP_1) | instid1(VALU_DEP_1)
	v_lshlrev_b64 v[3:4], 2, v[3:4]
	s_waitcnt lgkmcnt(0)
	v_add_co_u32 v3, vcc_lo, s4, v3
	s_delay_alu instid0(VALU_DEP_2) | instskip(NEXT) | instid1(VALU_DEP_4)
	v_add_co_ci_u32_e32 v4, vcc_lo, s5, v4, vcc_lo
	v_add_co_u32 v7, vcc_lo, s6, v7
	v_add_co_ci_u32_e32 v8, vcc_lo, s7, v8, vcc_lo
	global_load_b32 v3, v[3:4], off
	s_waitcnt vmcnt(0)
	v_subrev_nc_u32_e32 v3, s14, v3
	s_delay_alu instid0(VALU_DEP_1) | instskip(NEXT) | instid1(VALU_DEP_1)
	v_ashrrev_i32_e32 v4, 31, v3
	v_lshlrev_b64 v[3:4], 2, v[3:4]
	s_delay_alu instid0(VALU_DEP_1) | instskip(NEXT) | instid1(VALU_DEP_2)
	v_add_co_u32 v3, vcc_lo, s0, v3
	v_add_co_ci_u32_e32 v4, vcc_lo, s1, v4, vcc_lo
	global_load_b32 v7, v[7:8], off
	global_load_b32 v3, v[3:4], off
	s_waitcnt vmcnt(0)
	v_fmac_f32_e32 v5, v7, v3
	s_branch .LBB10_9
.LBB10_12:
	s_set_inst_prefetch_distance 0x2
	v_lshlrev_b32_e32 v1, 2, v0
	s_waitcnt lgkmcnt(0)
	s_mov_b32 s0, exec_lo
	ds_store_b32 v1, v5
	s_waitcnt lgkmcnt(0)
	s_barrier
	buffer_gl0_inv
	v_cmpx_gt_u32_e32 28, v0
	s_cbranch_execz .LBB10_14
; %bb.13:
	ds_load_2addr_b32 v[2:3], v1 offset1:28
	s_waitcnt lgkmcnt(0)
	v_add_f32_e32 v2, v3, v2
	ds_store_b32 v1, v2
.LBB10_14:
	s_or_b32 exec_lo, exec_lo, s0
	v_cmp_gt_u32_e32 vcc_lo, 14, v0
	s_waitcnt lgkmcnt(0)
	s_barrier
	buffer_gl0_inv
	s_and_saveexec_b32 s0, vcc_lo
	s_cbranch_execz .LBB10_16
; %bb.15:
	ds_load_2addr_b32 v[2:3], v1 offset1:14
	s_waitcnt lgkmcnt(0)
	v_add_f32_e32 v2, v3, v2
	ds_store_b32 v1, v2
.LBB10_16:
	s_or_b32 exec_lo, exec_lo, s0
	s_waitcnt lgkmcnt(0)
	s_barrier
	buffer_gl0_inv
	s_and_saveexec_b32 s0, vcc_lo
	s_cbranch_execz .LBB10_18
; %bb.17:
	ds_load_b32 v5, v1
.LBB10_18:
	s_or_b32 exec_lo, exec_lo, s0
	s_and_saveexec_b32 s0, vcc_lo
	s_cbranch_execz .LBB10_22
; %bb.19:
	v_cmp_eq_f32_e64 s0, s2, 0
	s_waitcnt lgkmcnt(0)
	v_mul_f32_e32 v1, s10, v5
	s_delay_alu instid0(VALU_DEP_2)
	s_and_b32 vcc_lo, exec_lo, s0
	s_mov_b32 s0, 0
	s_cbranch_vccz .LBB10_23
; %bb.20:
	s_delay_alu instid0(VALU_DEP_1) | instskip(SKIP_1) | instid1(VALU_DEP_1)
	v_mad_u64_u32 v[2:3], null, s8, 14, v[0:1]
	v_mov_b32_e32 v3, 0
	v_lshlrev_b64 v[2:3], 2, v[2:3]
	s_delay_alu instid0(VALU_DEP_1) | instskip(NEXT) | instid1(VALU_DEP_2)
	v_add_co_u32 v2, vcc_lo, s12, v2
	v_add_co_ci_u32_e32 v3, vcc_lo, s13, v3, vcc_lo
	global_store_b32 v[2:3], v1, off
	s_and_not1_b32 vcc_lo, exec_lo, s0
	s_cbranch_vccnz .LBB10_22
.LBB10_21:
	v_mad_u64_u32 v[2:3], null, s8, 14, v[0:1]
	v_mov_b32_e32 v3, 0
	s_delay_alu instid0(VALU_DEP_1) | instskip(NEXT) | instid1(VALU_DEP_1)
	v_lshlrev_b64 v[2:3], 2, v[2:3]
	v_add_co_u32 v2, vcc_lo, s12, v2
	s_delay_alu instid0(VALU_DEP_2)
	v_add_co_ci_u32_e32 v3, vcc_lo, s13, v3, vcc_lo
	global_load_b32 v0, v[2:3], off
	s_waitcnt vmcnt(0)
	v_fmac_f32_e32 v1, s2, v0
	global_store_b32 v[2:3], v1, off
.LBB10_22:
	s_nop 0
	s_sendmsg sendmsg(MSG_DEALLOC_VGPRS)
	s_endpgm
.LBB10_23:
	s_branch .LBB10_21
	.section	.rodata,"a",@progbits
	.p2align	6, 0x0
	.amdhsa_kernel _ZN9rocsparseL22gebsrmvn_mxn_16_kernelILj56ELj14ELj1EfEEvi20rocsparse_direction_NS_24const_host_device_scalarIT2_EEPKiS6_PKS3_iiS8_S4_PS3_21rocsparse_index_base_b
		.amdhsa_group_segment_fixed_size 224
		.amdhsa_private_segment_fixed_size 0
		.amdhsa_kernarg_size 80
		.amdhsa_user_sgpr_count 15
		.amdhsa_user_sgpr_dispatch_ptr 0
		.amdhsa_user_sgpr_queue_ptr 0
		.amdhsa_user_sgpr_kernarg_segment_ptr 1
		.amdhsa_user_sgpr_dispatch_id 0
		.amdhsa_user_sgpr_private_segment_size 0
		.amdhsa_wavefront_size32 1
		.amdhsa_uses_dynamic_stack 0
		.amdhsa_enable_private_segment 0
		.amdhsa_system_sgpr_workgroup_id_x 1
		.amdhsa_system_sgpr_workgroup_id_y 0
		.amdhsa_system_sgpr_workgroup_id_z 0
		.amdhsa_system_sgpr_workgroup_info 0
		.amdhsa_system_vgpr_workitem_id 0
		.amdhsa_next_free_vgpr 9
		.amdhsa_next_free_sgpr 18
		.amdhsa_reserve_vcc 1
		.amdhsa_float_round_mode_32 0
		.amdhsa_float_round_mode_16_64 0
		.amdhsa_float_denorm_mode_32 3
		.amdhsa_float_denorm_mode_16_64 3
		.amdhsa_dx10_clamp 1
		.amdhsa_ieee_mode 1
		.amdhsa_fp16_overflow 0
		.amdhsa_workgroup_processor_mode 1
		.amdhsa_memory_ordered 1
		.amdhsa_forward_progress 0
		.amdhsa_shared_vgpr_count 0
		.amdhsa_exception_fp_ieee_invalid_op 0
		.amdhsa_exception_fp_denorm_src 0
		.amdhsa_exception_fp_ieee_div_zero 0
		.amdhsa_exception_fp_ieee_overflow 0
		.amdhsa_exception_fp_ieee_underflow 0
		.amdhsa_exception_fp_ieee_inexact 0
		.amdhsa_exception_int_div_zero 0
	.end_amdhsa_kernel
	.section	.text._ZN9rocsparseL22gebsrmvn_mxn_16_kernelILj56ELj14ELj1EfEEvi20rocsparse_direction_NS_24const_host_device_scalarIT2_EEPKiS6_PKS3_iiS8_S4_PS3_21rocsparse_index_base_b,"axG",@progbits,_ZN9rocsparseL22gebsrmvn_mxn_16_kernelILj56ELj14ELj1EfEEvi20rocsparse_direction_NS_24const_host_device_scalarIT2_EEPKiS6_PKS3_iiS8_S4_PS3_21rocsparse_index_base_b,comdat
.Lfunc_end10:
	.size	_ZN9rocsparseL22gebsrmvn_mxn_16_kernelILj56ELj14ELj1EfEEvi20rocsparse_direction_NS_24const_host_device_scalarIT2_EEPKiS6_PKS3_iiS8_S4_PS3_21rocsparse_index_base_b, .Lfunc_end10-_ZN9rocsparseL22gebsrmvn_mxn_16_kernelILj56ELj14ELj1EfEEvi20rocsparse_direction_NS_24const_host_device_scalarIT2_EEPKiS6_PKS3_iiS8_S4_PS3_21rocsparse_index_base_b
                                        ; -- End function
	.section	.AMDGPU.csdata,"",@progbits
; Kernel info:
; codeLenInByte = 808
; NumSgprs: 20
; NumVgprs: 9
; ScratchSize: 0
; MemoryBound: 0
; FloatMode: 240
; IeeeMode: 1
; LDSByteSize: 224 bytes/workgroup (compile time only)
; SGPRBlocks: 2
; VGPRBlocks: 1
; NumSGPRsForWavesPerEU: 20
; NumVGPRsForWavesPerEU: 9
; Occupancy: 16
; WaveLimiterHint : 1
; COMPUTE_PGM_RSRC2:SCRATCH_EN: 0
; COMPUTE_PGM_RSRC2:USER_SGPR: 15
; COMPUTE_PGM_RSRC2:TRAP_HANDLER: 0
; COMPUTE_PGM_RSRC2:TGID_X_EN: 1
; COMPUTE_PGM_RSRC2:TGID_Y_EN: 0
; COMPUTE_PGM_RSRC2:TGID_Z_EN: 0
; COMPUTE_PGM_RSRC2:TIDIG_COMP_CNT: 0
	.section	.text._ZN9rocsparseL22gebsrmvn_mxn_16_kernelILj56ELj14ELj2EfEEvi20rocsparse_direction_NS_24const_host_device_scalarIT2_EEPKiS6_PKS3_iiS8_S4_PS3_21rocsparse_index_base_b,"axG",@progbits,_ZN9rocsparseL22gebsrmvn_mxn_16_kernelILj56ELj14ELj2EfEEvi20rocsparse_direction_NS_24const_host_device_scalarIT2_EEPKiS6_PKS3_iiS8_S4_PS3_21rocsparse_index_base_b,comdat
	.globl	_ZN9rocsparseL22gebsrmvn_mxn_16_kernelILj56ELj14ELj2EfEEvi20rocsparse_direction_NS_24const_host_device_scalarIT2_EEPKiS6_PKS3_iiS8_S4_PS3_21rocsparse_index_base_b ; -- Begin function _ZN9rocsparseL22gebsrmvn_mxn_16_kernelILj56ELj14ELj2EfEEvi20rocsparse_direction_NS_24const_host_device_scalarIT2_EEPKiS6_PKS3_iiS8_S4_PS3_21rocsparse_index_base_b
	.p2align	8
	.type	_ZN9rocsparseL22gebsrmvn_mxn_16_kernelILj56ELj14ELj2EfEEvi20rocsparse_direction_NS_24const_host_device_scalarIT2_EEPKiS6_PKS3_iiS8_S4_PS3_21rocsparse_index_base_b,@function
_ZN9rocsparseL22gebsrmvn_mxn_16_kernelILj56ELj14ELj2EfEEvi20rocsparse_direction_NS_24const_host_device_scalarIT2_EEPKiS6_PKS3_iiS8_S4_PS3_21rocsparse_index_base_b: ; @_ZN9rocsparseL22gebsrmvn_mxn_16_kernelILj56ELj14ELj2EfEEvi20rocsparse_direction_NS_24const_host_device_scalarIT2_EEPKiS6_PKS3_iiS8_S4_PS3_21rocsparse_index_base_b
; %bb.0:
	s_mov_b32 s8, s15
	s_clause 0x2
	s_load_b64 s[14:15], s[0:1], 0x48
	s_load_b64 s[10:11], s[0:1], 0x8
	;; [unrolled: 1-line block ×3, first 2 shown]
	s_waitcnt lgkmcnt(0)
	s_bitcmp1_b32 s15, 0
	s_cselect_b32 s4, -1, 0
	s_delay_alu instid0(SALU_CYCLE_1)
	s_and_b32 vcc_lo, exec_lo, s4
	s_xor_b32 s4, s4, -1
	s_cbranch_vccnz .LBB11_2
; %bb.1:
	s_load_b32 s10, s[10:11], 0x0
.LBB11_2:
	s_and_not1_b32 vcc_lo, exec_lo, s4
	s_cbranch_vccnz .LBB11_4
; %bb.3:
	s_load_b32 s2, s[2:3], 0x0
.LBB11_4:
	s_waitcnt lgkmcnt(0)
	v_cmp_eq_f32_e64 s3, s10, 0
	v_cmp_eq_f32_e64 s4, s2, 1.0
	s_delay_alu instid0(VALU_DEP_1) | instskip(NEXT) | instid1(SALU_CYCLE_1)
	s_and_b32 s3, s3, s4
	s_and_b32 vcc_lo, exec_lo, s3
	s_cbranch_vccnz .LBB11_30
; %bb.5:
	s_clause 0x1
	s_load_b32 s3, s[0:1], 0x4
	s_load_b64 s[4:5], s[0:1], 0x10
	v_and_b32_e32 v6, 1, v0
	s_delay_alu instid0(VALU_DEP_1) | instskip(SKIP_3) | instid1(SALU_CYCLE_1)
	v_mov_b32_e32 v7, v6
	s_waitcnt lgkmcnt(0)
	s_cmp_lg_u32 s3, 1
	s_cselect_b32 s3, -1, 0
	s_and_b32 vcc_lo, exec_lo, s3
	s_cbranch_vccnz .LBB11_7
; %bb.6:
	v_mul_u32_u24_e32 v1, 0x124a, v0
	s_delay_alu instid0(VALU_DEP_1)
	v_bfe_u32 v7, v1, 16, 1
.LBB11_7:
	s_ashr_i32 s9, s8, 31
	v_mov_b32_e32 v5, 0
	s_lshl_b64 s[6:7], s[8:9], 2
	s_delay_alu instid0(SALU_CYCLE_1)
	s_add_u32 s4, s4, s6
	s_addc_u32 s5, s5, s7
	s_load_b64 s[16:17], s[4:5], 0x0
	s_load_b64 s[12:13], s[0:1], 0x40
	s_waitcnt lgkmcnt(0)
	s_cmp_ge_i32 s16, s17
	s_cbranch_scc1 .LBB11_12
; %bb.8:
	s_clause 0x1
	s_load_b128 s[4:7], s[0:1], 0x18
	s_load_b64 s[0:1], s[0:1], 0x30
	v_mad_u64_u32 v[1:2], null, s16, 28, v[0:1]
	v_mul_u32_u24_e32 v3, 0x925, v0
	v_mov_b32_e32 v2, 0
	s_mul_i32 s9, s14, 28
	s_sub_i32 s11, s16, s14
	s_delay_alu instid0(VALU_DEP_2) | instskip(NEXT) | instid1(VALU_DEP_4)
	v_lshrrev_b32_e32 v8, 16, v3
	v_subrev_nc_u32_e32 v1, s9, v1
	v_mov_b32_e32 v5, v2
	s_sub_i32 s9, s17, s14
	s_set_inst_prefetch_distance 0x1
	s_branch .LBB11_10
	.p2align	6
.LBB11_9:                               ;   in Loop: Header=BB11_10 Depth=1
	s_or_b32 exec_lo, exec_lo, s15
	v_add_nc_u32_e32 v1, 56, v1
	s_add_i32 s11, s11, 2
	s_delay_alu instid0(SALU_CYCLE_1)
	s_cmp_ge_i32 s11, s9
	s_cbranch_scc1 .LBB11_12
.LBB11_10:                              ; =>This Inner Loop Header: Depth=1
	v_add_nc_u32_e32 v3, s11, v8
	s_mov_b32 s15, exec_lo
	s_delay_alu instid0(VALU_DEP_1)
	v_cmpx_gt_i32_e64 s9, v3
	s_cbranch_execz .LBB11_9
; %bb.11:                               ;   in Loop: Header=BB11_10 Depth=1
	v_ashrrev_i32_e32 v4, 31, v3
	v_lshlrev_b64 v[9:10], 2, v[1:2]
	s_delay_alu instid0(VALU_DEP_2) | instskip(SKIP_1) | instid1(VALU_DEP_1)
	v_lshlrev_b64 v[3:4], 2, v[3:4]
	s_waitcnt lgkmcnt(0)
	v_add_co_u32 v3, vcc_lo, s4, v3
	s_delay_alu instid0(VALU_DEP_2) | instskip(NEXT) | instid1(VALU_DEP_4)
	v_add_co_ci_u32_e32 v4, vcc_lo, s5, v4, vcc_lo
	v_add_co_u32 v9, vcc_lo, s6, v9
	v_add_co_ci_u32_e32 v10, vcc_lo, s7, v10, vcc_lo
	global_load_b32 v3, v[3:4], off
	s_waitcnt vmcnt(0)
	v_subrev_nc_u32_e32 v3, s14, v3
	s_delay_alu instid0(VALU_DEP_1) | instskip(NEXT) | instid1(VALU_DEP_1)
	v_lshl_or_b32 v3, v3, 1, v7
	v_ashrrev_i32_e32 v4, 31, v3
	s_delay_alu instid0(VALU_DEP_1) | instskip(NEXT) | instid1(VALU_DEP_1)
	v_lshlrev_b64 v[3:4], 2, v[3:4]
	v_add_co_u32 v3, vcc_lo, s0, v3
	s_delay_alu instid0(VALU_DEP_2)
	v_add_co_ci_u32_e32 v4, vcc_lo, s1, v4, vcc_lo
	global_load_b32 v9, v[9:10], off
	global_load_b32 v3, v[3:4], off
	s_waitcnt vmcnt(0)
	v_fmac_f32_e32 v5, v9, v3
	s_branch .LBB11_9
.LBB11_12:
	s_set_inst_prefetch_distance 0x2
	v_lshlrev_b32_e32 v1, 2, v0
	s_waitcnt lgkmcnt(0)
	s_mov_b32 s0, exec_lo
	ds_store_b32 v1, v5
	s_waitcnt lgkmcnt(0)
	s_barrier
	buffer_gl0_inv
	v_cmpx_gt_u32_e32 28, v0
	s_cbranch_execz .LBB11_14
; %bb.13:
	ds_load_2addr_b32 v[2:3], v1 offset1:28
	s_waitcnt lgkmcnt(0)
	v_add_f32_e32 v2, v3, v2
	ds_store_b32 v1, v2
.LBB11_14:
	s_or_b32 exec_lo, exec_lo, s0
	s_delay_alu instid0(SALU_CYCLE_1)
	s_and_b32 vcc_lo, exec_lo, s3
	s_waitcnt lgkmcnt(0)
	s_barrier
	buffer_gl0_inv
	s_cbranch_vccz .LBB11_20
; %bb.15:
	s_mov_b32 s0, exec_lo
	v_cmpx_eq_u32_e32 0, v6
	s_cbranch_execz .LBB11_17
; %bb.16:
	ds_load_2addr_b32 v[2:3], v1 offset1:1
	s_waitcnt lgkmcnt(0)
	v_add_f32_e32 v2, v3, v2
	ds_store_b32 v1, v2
.LBB11_17:
	s_or_b32 exec_lo, exec_lo, s0
	v_mov_b32_e32 v2, v5
	s_mov_b32 s0, exec_lo
	s_waitcnt lgkmcnt(0)
	s_barrier
	buffer_gl0_inv
	v_cmpx_gt_u32_e32 14, v0
	s_cbranch_execz .LBB11_19
; %bb.18:
	v_lshl_add_u32 v2, v0, 2, v1
	ds_load_b32 v2, v2
.LBB11_19:
	s_or_b32 exec_lo, exec_lo, s0
	s_branch .LBB11_26
.LBB11_20:
                                        ; implicit-def: $vgpr2
	s_cbranch_execz .LBB11_26
; %bb.21:
	s_mov_b32 s0, exec_lo
	v_cmpx_lt_u32_e32 13, v0
	s_xor_b32 s0, exec_lo, s0
	s_cbranch_execz .LBB11_23
; %bb.22:
	s_waitcnt lgkmcnt(0)
	buffer_gl0_inv
                                        ; implicit-def: $vgpr1
.LBB11_23:
	s_and_not1_saveexec_b32 s0, s0
	s_cbranch_execz .LBB11_25
; %bb.24:
	s_waitcnt lgkmcnt(0)
	ds_load_2addr_b32 v[2:3], v1 offset1:14
	s_waitcnt lgkmcnt(0)
	v_add_f32_e32 v2, v3, v2
	ds_store_b32 v1, v2
	s_waitcnt lgkmcnt(0)
	buffer_gl0_inv
	ds_load_b32 v5, v1
.LBB11_25:
	s_or_b32 exec_lo, exec_lo, s0
	s_waitcnt lgkmcnt(0)
	v_mov_b32_e32 v2, v5
.LBB11_26:
	s_mov_b32 s0, exec_lo
	v_cmpx_gt_u32_e32 14, v0
	s_cbranch_execz .LBB11_30
; %bb.27:
	v_cmp_eq_f32_e64 s0, s2, 0
	s_waitcnt lgkmcnt(0)
	v_mul_f32_e32 v1, s10, v2
	s_delay_alu instid0(VALU_DEP_2)
	s_and_b32 vcc_lo, exec_lo, s0
	s_mov_b32 s0, 0
	s_cbranch_vccz .LBB11_31
; %bb.28:
	s_delay_alu instid0(VALU_DEP_1) | instskip(SKIP_1) | instid1(VALU_DEP_1)
	v_mad_u64_u32 v[2:3], null, s8, 14, v[0:1]
	v_mov_b32_e32 v3, 0
	v_lshlrev_b64 v[2:3], 2, v[2:3]
	s_delay_alu instid0(VALU_DEP_1) | instskip(NEXT) | instid1(VALU_DEP_2)
	v_add_co_u32 v2, vcc_lo, s12, v2
	v_add_co_ci_u32_e32 v3, vcc_lo, s13, v3, vcc_lo
	global_store_b32 v[2:3], v1, off
	s_and_not1_b32 vcc_lo, exec_lo, s0
	s_cbranch_vccnz .LBB11_30
.LBB11_29:
	v_mad_u64_u32 v[2:3], null, s8, 14, v[0:1]
	v_mov_b32_e32 v3, 0
	s_delay_alu instid0(VALU_DEP_1) | instskip(NEXT) | instid1(VALU_DEP_1)
	v_lshlrev_b64 v[2:3], 2, v[2:3]
	v_add_co_u32 v2, vcc_lo, s12, v2
	s_delay_alu instid0(VALU_DEP_2)
	v_add_co_ci_u32_e32 v3, vcc_lo, s13, v3, vcc_lo
	global_load_b32 v0, v[2:3], off
	s_waitcnt vmcnt(0)
	v_fmac_f32_e32 v1, s2, v0
	global_store_b32 v[2:3], v1, off
.LBB11_30:
	s_nop 0
	s_sendmsg sendmsg(MSG_DEALLOC_VGPRS)
	s_endpgm
.LBB11_31:
	s_branch .LBB11_29
	.section	.rodata,"a",@progbits
	.p2align	6, 0x0
	.amdhsa_kernel _ZN9rocsparseL22gebsrmvn_mxn_16_kernelILj56ELj14ELj2EfEEvi20rocsparse_direction_NS_24const_host_device_scalarIT2_EEPKiS6_PKS3_iiS8_S4_PS3_21rocsparse_index_base_b
		.amdhsa_group_segment_fixed_size 224
		.amdhsa_private_segment_fixed_size 0
		.amdhsa_kernarg_size 80
		.amdhsa_user_sgpr_count 15
		.amdhsa_user_sgpr_dispatch_ptr 0
		.amdhsa_user_sgpr_queue_ptr 0
		.amdhsa_user_sgpr_kernarg_segment_ptr 1
		.amdhsa_user_sgpr_dispatch_id 0
		.amdhsa_user_sgpr_private_segment_size 0
		.amdhsa_wavefront_size32 1
		.amdhsa_uses_dynamic_stack 0
		.amdhsa_enable_private_segment 0
		.amdhsa_system_sgpr_workgroup_id_x 1
		.amdhsa_system_sgpr_workgroup_id_y 0
		.amdhsa_system_sgpr_workgroup_id_z 0
		.amdhsa_system_sgpr_workgroup_info 0
		.amdhsa_system_vgpr_workitem_id 0
		.amdhsa_next_free_vgpr 11
		.amdhsa_next_free_sgpr 18
		.amdhsa_reserve_vcc 1
		.amdhsa_float_round_mode_32 0
		.amdhsa_float_round_mode_16_64 0
		.amdhsa_float_denorm_mode_32 3
		.amdhsa_float_denorm_mode_16_64 3
		.amdhsa_dx10_clamp 1
		.amdhsa_ieee_mode 1
		.amdhsa_fp16_overflow 0
		.amdhsa_workgroup_processor_mode 1
		.amdhsa_memory_ordered 1
		.amdhsa_forward_progress 0
		.amdhsa_shared_vgpr_count 0
		.amdhsa_exception_fp_ieee_invalid_op 0
		.amdhsa_exception_fp_denorm_src 0
		.amdhsa_exception_fp_ieee_div_zero 0
		.amdhsa_exception_fp_ieee_overflow 0
		.amdhsa_exception_fp_ieee_underflow 0
		.amdhsa_exception_fp_ieee_inexact 0
		.amdhsa_exception_int_div_zero 0
	.end_amdhsa_kernel
	.section	.text._ZN9rocsparseL22gebsrmvn_mxn_16_kernelILj56ELj14ELj2EfEEvi20rocsparse_direction_NS_24const_host_device_scalarIT2_EEPKiS6_PKS3_iiS8_S4_PS3_21rocsparse_index_base_b,"axG",@progbits,_ZN9rocsparseL22gebsrmvn_mxn_16_kernelILj56ELj14ELj2EfEEvi20rocsparse_direction_NS_24const_host_device_scalarIT2_EEPKiS6_PKS3_iiS8_S4_PS3_21rocsparse_index_base_b,comdat
.Lfunc_end11:
	.size	_ZN9rocsparseL22gebsrmvn_mxn_16_kernelILj56ELj14ELj2EfEEvi20rocsparse_direction_NS_24const_host_device_scalarIT2_EEPKiS6_PKS3_iiS8_S4_PS3_21rocsparse_index_base_b, .Lfunc_end11-_ZN9rocsparseL22gebsrmvn_mxn_16_kernelILj56ELj14ELj2EfEEvi20rocsparse_direction_NS_24const_host_device_scalarIT2_EEPKiS6_PKS3_iiS8_S4_PS3_21rocsparse_index_base_b
                                        ; -- End function
	.section	.AMDGPU.csdata,"",@progbits
; Kernel info:
; codeLenInByte = 992
; NumSgprs: 20
; NumVgprs: 11
; ScratchSize: 0
; MemoryBound: 0
; FloatMode: 240
; IeeeMode: 1
; LDSByteSize: 224 bytes/workgroup (compile time only)
; SGPRBlocks: 2
; VGPRBlocks: 1
; NumSGPRsForWavesPerEU: 20
; NumVGPRsForWavesPerEU: 11
; Occupancy: 16
; WaveLimiterHint : 1
; COMPUTE_PGM_RSRC2:SCRATCH_EN: 0
; COMPUTE_PGM_RSRC2:USER_SGPR: 15
; COMPUTE_PGM_RSRC2:TRAP_HANDLER: 0
; COMPUTE_PGM_RSRC2:TGID_X_EN: 1
; COMPUTE_PGM_RSRC2:TGID_Y_EN: 0
; COMPUTE_PGM_RSRC2:TGID_Z_EN: 0
; COMPUTE_PGM_RSRC2:TIDIG_COMP_CNT: 0
	.section	.text._ZN9rocsparseL22gebsrmvn_mxn_16_kernelILj42ELj14ELj3EfEEvi20rocsparse_direction_NS_24const_host_device_scalarIT2_EEPKiS6_PKS3_iiS8_S4_PS3_21rocsparse_index_base_b,"axG",@progbits,_ZN9rocsparseL22gebsrmvn_mxn_16_kernelILj42ELj14ELj3EfEEvi20rocsparse_direction_NS_24const_host_device_scalarIT2_EEPKiS6_PKS3_iiS8_S4_PS3_21rocsparse_index_base_b,comdat
	.globl	_ZN9rocsparseL22gebsrmvn_mxn_16_kernelILj42ELj14ELj3EfEEvi20rocsparse_direction_NS_24const_host_device_scalarIT2_EEPKiS6_PKS3_iiS8_S4_PS3_21rocsparse_index_base_b ; -- Begin function _ZN9rocsparseL22gebsrmvn_mxn_16_kernelILj42ELj14ELj3EfEEvi20rocsparse_direction_NS_24const_host_device_scalarIT2_EEPKiS6_PKS3_iiS8_S4_PS3_21rocsparse_index_base_b
	.p2align	8
	.type	_ZN9rocsparseL22gebsrmvn_mxn_16_kernelILj42ELj14ELj3EfEEvi20rocsparse_direction_NS_24const_host_device_scalarIT2_EEPKiS6_PKS3_iiS8_S4_PS3_21rocsparse_index_base_b,@function
_ZN9rocsparseL22gebsrmvn_mxn_16_kernelILj42ELj14ELj3EfEEvi20rocsparse_direction_NS_24const_host_device_scalarIT2_EEPKiS6_PKS3_iiS8_S4_PS3_21rocsparse_index_base_b: ; @_ZN9rocsparseL22gebsrmvn_mxn_16_kernelILj42ELj14ELj3EfEEvi20rocsparse_direction_NS_24const_host_device_scalarIT2_EEPKiS6_PKS3_iiS8_S4_PS3_21rocsparse_index_base_b
; %bb.0:
	s_mov_b32 s8, s15
	s_clause 0x2
	s_load_b64 s[14:15], s[0:1], 0x48
	s_load_b64 s[10:11], s[0:1], 0x8
	;; [unrolled: 1-line block ×3, first 2 shown]
	s_waitcnt lgkmcnt(0)
	s_bitcmp1_b32 s15, 0
	s_cselect_b32 s4, -1, 0
	s_delay_alu instid0(SALU_CYCLE_1)
	s_and_b32 vcc_lo, exec_lo, s4
	s_xor_b32 s4, s4, -1
	s_cbranch_vccnz .LBB12_2
; %bb.1:
	s_load_b32 s10, s[10:11], 0x0
.LBB12_2:
	s_and_not1_b32 vcc_lo, exec_lo, s4
	s_cbranch_vccnz .LBB12_4
; %bb.3:
	s_load_b32 s2, s[2:3], 0x0
.LBB12_4:
	s_waitcnt lgkmcnt(0)
	v_cmp_eq_f32_e64 s3, s10, 0
	v_cmp_eq_f32_e64 s4, s2, 1.0
	s_delay_alu instid0(VALU_DEP_1) | instskip(NEXT) | instid1(SALU_CYCLE_1)
	s_and_b32 s3, s3, s4
	s_and_b32 vcc_lo, exec_lo, s3
	s_cbranch_vccnz .LBB12_32
; %bb.5:
	v_mul_u32_u24_e32 v1, 0x5556, v0
	s_clause 0x1
	s_load_b32 s3, s[0:1], 0x4
	s_load_b64 s[4:5], s[0:1], 0x10
	s_delay_alu instid0(VALU_DEP_1) | instskip(NEXT) | instid1(VALU_DEP_1)
	v_lshrrev_b32_e32 v1, 16, v1
	v_mul_lo_u16 v1, v1, 3
	s_delay_alu instid0(VALU_DEP_1) | instskip(NEXT) | instid1(VALU_DEP_1)
	v_sub_nc_u16 v1, v0, v1
	v_and_b32_e32 v7, 0xffff, v1
	s_waitcnt lgkmcnt(0)
	s_cmp_lg_u32 s3, 1
	v_and_b32_e32 v2, 0xffff, v0
	s_cselect_b32 s3, -1, 0
	v_mov_b32_e32 v1, v7
	s_and_b32 vcc_lo, exec_lo, s3
	s_cbranch_vccnz .LBB12_7
; %bb.6:
	v_mul_u32_u24_e32 v1, 0x124a, v2
	s_delay_alu instid0(VALU_DEP_1) | instskip(NEXT) | instid1(VALU_DEP_1)
	v_lshrrev_b32_e32 v1, 16, v1
	v_mul_lo_u16 v3, 0x56, v1
	s_delay_alu instid0(VALU_DEP_1) | instskip(NEXT) | instid1(VALU_DEP_1)
	v_lshrrev_b16 v3, 8, v3
	v_mul_lo_u16 v3, v3, 3
	s_delay_alu instid0(VALU_DEP_1) | instskip(NEXT) | instid1(VALU_DEP_1)
	v_sub_nc_u16 v1, v1, v3
	v_and_b32_e32 v1, 0xff, v1
.LBB12_7:
	s_ashr_i32 s9, s8, 31
	v_mov_b32_e32 v6, 0
	s_lshl_b64 s[6:7], s[8:9], 2
	s_delay_alu instid0(SALU_CYCLE_1)
	s_add_u32 s4, s4, s6
	s_addc_u32 s5, s5, s7
	s_load_b64 s[16:17], s[4:5], 0x0
	s_load_b64 s[12:13], s[0:1], 0x40
	s_waitcnt lgkmcnt(0)
	s_cmp_ge_i32 s16, s17
	s_cbranch_scc1 .LBB12_12
; %bb.8:
	s_clause 0x1
	s_load_b128 s[4:7], s[0:1], 0x18
	s_load_b64 s[0:1], s[0:1], 0x30
	v_mad_u64_u32 v[4:5], null, s16, 42, v[0:1]
	v_mul_u32_u24_e32 v2, 0x619, v2
	v_mov_b32_e32 v3, 0
	s_mul_i32 s9, s14, 42
	s_sub_i32 s11, s16, s14
	s_delay_alu instid0(VALU_DEP_2) | instskip(NEXT) | instid1(VALU_DEP_4)
	v_lshrrev_b32_e32 v8, 16, v2
	v_subrev_nc_u32_e32 v2, s9, v4
	v_mov_b32_e32 v6, v3
	s_sub_i32 s9, s17, s14
	s_set_inst_prefetch_distance 0x1
	s_branch .LBB12_10
	.p2align	6
.LBB12_9:                               ;   in Loop: Header=BB12_10 Depth=1
	s_or_b32 exec_lo, exec_lo, s15
	v_add_nc_u32_e32 v2, 42, v2
	s_add_i32 s11, s11, 1
	s_delay_alu instid0(SALU_CYCLE_1)
	s_cmp_ge_i32 s11, s9
	s_cbranch_scc1 .LBB12_12
.LBB12_10:                              ; =>This Inner Loop Header: Depth=1
	v_add_nc_u32_e32 v4, s11, v8
	s_mov_b32 s15, exec_lo
	s_delay_alu instid0(VALU_DEP_1)
	v_cmpx_gt_i32_e64 s9, v4
	s_cbranch_execz .LBB12_9
; %bb.11:                               ;   in Loop: Header=BB12_10 Depth=1
	v_ashrrev_i32_e32 v5, 31, v4
	s_delay_alu instid0(VALU_DEP_1) | instskip(SKIP_1) | instid1(VALU_DEP_1)
	v_lshlrev_b64 v[4:5], 2, v[4:5]
	s_waitcnt lgkmcnt(0)
	v_add_co_u32 v4, vcc_lo, s4, v4
	s_delay_alu instid0(VALU_DEP_2) | instskip(SKIP_3) | instid1(VALU_DEP_1)
	v_add_co_ci_u32_e32 v5, vcc_lo, s5, v5, vcc_lo
	global_load_b32 v4, v[4:5], off
	s_waitcnt vmcnt(0)
	v_subrev_nc_u32_e32 v9, s14, v4
	v_mad_u64_u32 v[4:5], null, v9, 3, v[1:2]
	v_lshlrev_b64 v[9:10], 2, v[2:3]
	s_delay_alu instid0(VALU_DEP_1) | instskip(NEXT) | instid1(VALU_DEP_3)
	v_add_co_u32 v9, vcc_lo, s6, v9
	v_ashrrev_i32_e32 v5, 31, v4
	s_delay_alu instid0(VALU_DEP_3) | instskip(NEXT) | instid1(VALU_DEP_2)
	v_add_co_ci_u32_e32 v10, vcc_lo, s7, v10, vcc_lo
	v_lshlrev_b64 v[4:5], 2, v[4:5]
	s_delay_alu instid0(VALU_DEP_1) | instskip(NEXT) | instid1(VALU_DEP_2)
	v_add_co_u32 v4, vcc_lo, s0, v4
	v_add_co_ci_u32_e32 v5, vcc_lo, s1, v5, vcc_lo
	global_load_b32 v9, v[9:10], off
	global_load_b32 v4, v[4:5], off
	s_waitcnt vmcnt(0)
	v_fmac_f32_e32 v6, v9, v4
	s_branch .LBB12_9
.LBB12_12:
	s_set_inst_prefetch_distance 0x2
	v_lshlrev_b32_e32 v1, 2, v0
	s_and_b32 vcc_lo, exec_lo, s3
	ds_store_b32 v1, v6
	s_waitcnt lgkmcnt(0)
	s_barrier
	buffer_gl0_inv
	s_cbranch_vccz .LBB12_20
; %bb.13:
	v_cmp_eq_u16_e32 vcc_lo, 0, v7
	s_and_saveexec_b32 s0, vcc_lo
	s_cbranch_execz .LBB12_15
; %bb.14:
	ds_load_2addr_b32 v[2:3], v1 offset1:2
	s_waitcnt lgkmcnt(0)
	v_add_f32_e32 v2, v3, v2
	ds_store_b32 v1, v2
.LBB12_15:
	s_or_b32 exec_lo, exec_lo, s0
	s_waitcnt lgkmcnt(0)
	s_barrier
	buffer_gl0_inv
	s_and_saveexec_b32 s0, vcc_lo
	s_cbranch_execz .LBB12_17
; %bb.16:
	ds_load_2addr_b32 v[2:3], v1 offset1:1
	s_waitcnt lgkmcnt(0)
	v_add_f32_e32 v2, v3, v2
	ds_store_b32 v1, v2
.LBB12_17:
	s_or_b32 exec_lo, exec_lo, s0
	v_mov_b32_e32 v2, v6
	s_mov_b32 s0, exec_lo
	s_waitcnt lgkmcnt(0)
	s_barrier
	buffer_gl0_inv
	v_cmpx_gt_u32_e32 14, v0
	s_cbranch_execz .LBB12_19
; %bb.18:
	v_lshl_add_u32 v2, v0, 3, v1
	ds_load_b32 v2, v2
.LBB12_19:
	s_or_b32 exec_lo, exec_lo, s0
	v_cmp_gt_u32_e64 s0, 14, v0
	s_branch .LBB12_28
.LBB12_20:
                                        ; implicit-def: $vgpr2
	v_cmp_gt_u32_e64 s0, 14, v0
	s_cbranch_execz .LBB12_28
; %bb.21:
	v_cmp_lt_u32_e32 vcc_lo, 13, v0
	s_delay_alu instid0(VALU_DEP_2)
	s_and_saveexec_b32 s1, s0
	s_cbranch_execz .LBB12_23
; %bb.22:
	s_waitcnt lgkmcnt(0)
	ds_load_2addr_b32 v[2:3], v1 offset1:28
	s_waitcnt lgkmcnt(0)
	v_add_f32_e32 v2, v3, v2
	ds_store_b32 v1, v2
.LBB12_23:
	s_or_b32 exec_lo, exec_lo, s1
	s_waitcnt lgkmcnt(0)
	s_barrier
	buffer_gl0_inv
	s_and_saveexec_b32 s0, vcc_lo
	s_delay_alu instid0(SALU_CYCLE_1)
	s_xor_b32 s0, exec_lo, s0
	s_cbranch_execz .LBB12_25
; %bb.24:
	buffer_gl0_inv
                                        ; implicit-def: $vgpr1
.LBB12_25:
	s_and_not1_saveexec_b32 s0, s0
	s_cbranch_execz .LBB12_27
; %bb.26:
	ds_load_2addr_b32 v[2:3], v1 offset1:14
	s_waitcnt lgkmcnt(0)
	v_add_f32_e32 v2, v3, v2
	ds_store_b32 v1, v2
	s_waitcnt lgkmcnt(0)
	buffer_gl0_inv
	ds_load_b32 v6, v1
.LBB12_27:
	s_or_b32 exec_lo, exec_lo, s0
	s_waitcnt lgkmcnt(0)
	v_mov_b32_e32 v2, v6
.LBB12_28:
	s_mov_b32 s0, exec_lo
	v_cmpx_gt_u32_e32 14, v0
	s_cbranch_execz .LBB12_32
; %bb.29:
	v_cmp_eq_f32_e64 s0, s2, 0
	s_waitcnt lgkmcnt(0)
	v_mul_f32_e32 v1, s10, v2
	s_delay_alu instid0(VALU_DEP_2)
	s_and_b32 vcc_lo, exec_lo, s0
	s_mov_b32 s0, 0
	s_cbranch_vccz .LBB12_33
; %bb.30:
	s_delay_alu instid0(VALU_DEP_1) | instskip(SKIP_1) | instid1(VALU_DEP_1)
	v_mad_u64_u32 v[2:3], null, s8, 14, v[0:1]
	v_mov_b32_e32 v3, 0
	v_lshlrev_b64 v[2:3], 2, v[2:3]
	s_delay_alu instid0(VALU_DEP_1) | instskip(NEXT) | instid1(VALU_DEP_2)
	v_add_co_u32 v2, vcc_lo, s12, v2
	v_add_co_ci_u32_e32 v3, vcc_lo, s13, v3, vcc_lo
	global_store_b32 v[2:3], v1, off
	s_and_not1_b32 vcc_lo, exec_lo, s0
	s_cbranch_vccnz .LBB12_32
.LBB12_31:
	v_mad_u64_u32 v[2:3], null, s8, 14, v[0:1]
	v_mov_b32_e32 v3, 0
	s_delay_alu instid0(VALU_DEP_1) | instskip(NEXT) | instid1(VALU_DEP_1)
	v_lshlrev_b64 v[2:3], 2, v[2:3]
	v_add_co_u32 v2, vcc_lo, s12, v2
	s_delay_alu instid0(VALU_DEP_2)
	v_add_co_ci_u32_e32 v3, vcc_lo, s13, v3, vcc_lo
	global_load_b32 v0, v[2:3], off
	s_waitcnt vmcnt(0)
	v_fmac_f32_e32 v1, s2, v0
	global_store_b32 v[2:3], v1, off
.LBB12_32:
	s_nop 0
	s_sendmsg sendmsg(MSG_DEALLOC_VGPRS)
	s_endpgm
.LBB12_33:
	s_branch .LBB12_31
	.section	.rodata,"a",@progbits
	.p2align	6, 0x0
	.amdhsa_kernel _ZN9rocsparseL22gebsrmvn_mxn_16_kernelILj42ELj14ELj3EfEEvi20rocsparse_direction_NS_24const_host_device_scalarIT2_EEPKiS6_PKS3_iiS8_S4_PS3_21rocsparse_index_base_b
		.amdhsa_group_segment_fixed_size 168
		.amdhsa_private_segment_fixed_size 0
		.amdhsa_kernarg_size 80
		.amdhsa_user_sgpr_count 15
		.amdhsa_user_sgpr_dispatch_ptr 0
		.amdhsa_user_sgpr_queue_ptr 0
		.amdhsa_user_sgpr_kernarg_segment_ptr 1
		.amdhsa_user_sgpr_dispatch_id 0
		.amdhsa_user_sgpr_private_segment_size 0
		.amdhsa_wavefront_size32 1
		.amdhsa_uses_dynamic_stack 0
		.amdhsa_enable_private_segment 0
		.amdhsa_system_sgpr_workgroup_id_x 1
		.amdhsa_system_sgpr_workgroup_id_y 0
		.amdhsa_system_sgpr_workgroup_id_z 0
		.amdhsa_system_sgpr_workgroup_info 0
		.amdhsa_system_vgpr_workitem_id 0
		.amdhsa_next_free_vgpr 11
		.amdhsa_next_free_sgpr 18
		.amdhsa_reserve_vcc 1
		.amdhsa_float_round_mode_32 0
		.amdhsa_float_round_mode_16_64 0
		.amdhsa_float_denorm_mode_32 3
		.amdhsa_float_denorm_mode_16_64 3
		.amdhsa_dx10_clamp 1
		.amdhsa_ieee_mode 1
		.amdhsa_fp16_overflow 0
		.amdhsa_workgroup_processor_mode 1
		.amdhsa_memory_ordered 1
		.amdhsa_forward_progress 0
		.amdhsa_shared_vgpr_count 0
		.amdhsa_exception_fp_ieee_invalid_op 0
		.amdhsa_exception_fp_denorm_src 0
		.amdhsa_exception_fp_ieee_div_zero 0
		.amdhsa_exception_fp_ieee_overflow 0
		.amdhsa_exception_fp_ieee_underflow 0
		.amdhsa_exception_fp_ieee_inexact 0
		.amdhsa_exception_int_div_zero 0
	.end_amdhsa_kernel
	.section	.text._ZN9rocsparseL22gebsrmvn_mxn_16_kernelILj42ELj14ELj3EfEEvi20rocsparse_direction_NS_24const_host_device_scalarIT2_EEPKiS6_PKS3_iiS8_S4_PS3_21rocsparse_index_base_b,"axG",@progbits,_ZN9rocsparseL22gebsrmvn_mxn_16_kernelILj42ELj14ELj3EfEEvi20rocsparse_direction_NS_24const_host_device_scalarIT2_EEPKiS6_PKS3_iiS8_S4_PS3_21rocsparse_index_base_b,comdat
.Lfunc_end12:
	.size	_ZN9rocsparseL22gebsrmvn_mxn_16_kernelILj42ELj14ELj3EfEEvi20rocsparse_direction_NS_24const_host_device_scalarIT2_EEPKiS6_PKS3_iiS8_S4_PS3_21rocsparse_index_base_b, .Lfunc_end12-_ZN9rocsparseL22gebsrmvn_mxn_16_kernelILj42ELj14ELj3EfEEvi20rocsparse_direction_NS_24const_host_device_scalarIT2_EEPKiS6_PKS3_iiS8_S4_PS3_21rocsparse_index_base_b
                                        ; -- End function
	.section	.AMDGPU.csdata,"",@progbits
; Kernel info:
; codeLenInByte = 1144
; NumSgprs: 20
; NumVgprs: 11
; ScratchSize: 0
; MemoryBound: 0
; FloatMode: 240
; IeeeMode: 1
; LDSByteSize: 168 bytes/workgroup (compile time only)
; SGPRBlocks: 2
; VGPRBlocks: 1
; NumSGPRsForWavesPerEU: 20
; NumVGPRsForWavesPerEU: 11
; Occupancy: 16
; WaveLimiterHint : 1
; COMPUTE_PGM_RSRC2:SCRATCH_EN: 0
; COMPUTE_PGM_RSRC2:USER_SGPR: 15
; COMPUTE_PGM_RSRC2:TRAP_HANDLER: 0
; COMPUTE_PGM_RSRC2:TGID_X_EN: 1
; COMPUTE_PGM_RSRC2:TGID_Y_EN: 0
; COMPUTE_PGM_RSRC2:TGID_Z_EN: 0
; COMPUTE_PGM_RSRC2:TIDIG_COMP_CNT: 0
	.section	.text._ZN9rocsparseL22gebsrmvn_mxn_16_kernelILj56ELj14ELj4EfEEvi20rocsparse_direction_NS_24const_host_device_scalarIT2_EEPKiS6_PKS3_iiS8_S4_PS3_21rocsparse_index_base_b,"axG",@progbits,_ZN9rocsparseL22gebsrmvn_mxn_16_kernelILj56ELj14ELj4EfEEvi20rocsparse_direction_NS_24const_host_device_scalarIT2_EEPKiS6_PKS3_iiS8_S4_PS3_21rocsparse_index_base_b,comdat
	.globl	_ZN9rocsparseL22gebsrmvn_mxn_16_kernelILj56ELj14ELj4EfEEvi20rocsparse_direction_NS_24const_host_device_scalarIT2_EEPKiS6_PKS3_iiS8_S4_PS3_21rocsparse_index_base_b ; -- Begin function _ZN9rocsparseL22gebsrmvn_mxn_16_kernelILj56ELj14ELj4EfEEvi20rocsparse_direction_NS_24const_host_device_scalarIT2_EEPKiS6_PKS3_iiS8_S4_PS3_21rocsparse_index_base_b
	.p2align	8
	.type	_ZN9rocsparseL22gebsrmvn_mxn_16_kernelILj56ELj14ELj4EfEEvi20rocsparse_direction_NS_24const_host_device_scalarIT2_EEPKiS6_PKS3_iiS8_S4_PS3_21rocsparse_index_base_b,@function
_ZN9rocsparseL22gebsrmvn_mxn_16_kernelILj56ELj14ELj4EfEEvi20rocsparse_direction_NS_24const_host_device_scalarIT2_EEPKiS6_PKS3_iiS8_S4_PS3_21rocsparse_index_base_b: ; @_ZN9rocsparseL22gebsrmvn_mxn_16_kernelILj56ELj14ELj4EfEEvi20rocsparse_direction_NS_24const_host_device_scalarIT2_EEPKiS6_PKS3_iiS8_S4_PS3_21rocsparse_index_base_b
; %bb.0:
	s_mov_b32 s8, s15
	s_clause 0x2
	s_load_b64 s[14:15], s[0:1], 0x48
	s_load_b64 s[10:11], s[0:1], 0x8
	;; [unrolled: 1-line block ×3, first 2 shown]
	s_waitcnt lgkmcnt(0)
	s_bitcmp1_b32 s15, 0
	s_cselect_b32 s4, -1, 0
	s_delay_alu instid0(SALU_CYCLE_1)
	s_and_b32 vcc_lo, exec_lo, s4
	s_xor_b32 s4, s4, -1
	s_cbranch_vccnz .LBB13_2
; %bb.1:
	s_load_b32 s10, s[10:11], 0x0
.LBB13_2:
	s_and_not1_b32 vcc_lo, exec_lo, s4
	s_cbranch_vccnz .LBB13_4
; %bb.3:
	s_load_b32 s2, s[2:3], 0x0
.LBB13_4:
	s_waitcnt lgkmcnt(0)
	v_cmp_eq_f32_e64 s3, s10, 0
	v_cmp_eq_f32_e64 s4, s2, 1.0
	s_delay_alu instid0(VALU_DEP_1) | instskip(NEXT) | instid1(SALU_CYCLE_1)
	s_and_b32 s3, s3, s4
	s_and_b32 vcc_lo, exec_lo, s3
	s_cbranch_vccnz .LBB13_32
; %bb.5:
	s_clause 0x1
	s_load_b32 s3, s[0:1], 0x4
	s_load_b64 s[4:5], s[0:1], 0x10
	v_and_b32_e32 v6, 3, v0
	s_delay_alu instid0(VALU_DEP_1) | instskip(SKIP_3) | instid1(SALU_CYCLE_1)
	v_mov_b32_e32 v7, v6
	s_waitcnt lgkmcnt(0)
	s_cmp_lg_u32 s3, 1
	s_cselect_b32 s3, -1, 0
	s_and_b32 vcc_lo, exec_lo, s3
	s_cbranch_vccnz .LBB13_7
; %bb.6:
	v_mul_u32_u24_e32 v1, 0x124a, v0
	s_delay_alu instid0(VALU_DEP_1)
	v_bfe_u32 v7, v1, 16, 2
.LBB13_7:
	s_ashr_i32 s9, s8, 31
	v_mov_b32_e32 v5, 0
	s_lshl_b64 s[6:7], s[8:9], 2
	s_delay_alu instid0(SALU_CYCLE_1)
	s_add_u32 s4, s4, s6
	s_addc_u32 s5, s5, s7
	s_load_b64 s[16:17], s[4:5], 0x0
	s_load_b64 s[12:13], s[0:1], 0x40
	s_waitcnt lgkmcnt(0)
	s_cmp_ge_i32 s16, s17
	s_cbranch_scc1 .LBB13_12
; %bb.8:
	s_clause 0x1
	s_load_b128 s[4:7], s[0:1], 0x18
	s_load_b64 s[0:1], s[0:1], 0x30
	v_mad_u64_u32 v[1:2], null, s16, 56, v[0:1]
	v_mul_u32_u24_e32 v3, 0x493, v0
	v_mov_b32_e32 v2, 0
	s_mul_i32 s9, s14, 56
	s_sub_i32 s11, s16, s14
	s_delay_alu instid0(VALU_DEP_2) | instskip(NEXT) | instid1(VALU_DEP_4)
	v_lshrrev_b32_e32 v8, 16, v3
	v_subrev_nc_u32_e32 v1, s9, v1
	v_mov_b32_e32 v5, v2
	s_sub_i32 s9, s17, s14
	s_set_inst_prefetch_distance 0x1
	s_branch .LBB13_10
	.p2align	6
.LBB13_9:                               ;   in Loop: Header=BB13_10 Depth=1
	s_or_b32 exec_lo, exec_lo, s15
	v_add_nc_u32_e32 v1, 56, v1
	s_add_i32 s11, s11, 1
	s_delay_alu instid0(SALU_CYCLE_1)
	s_cmp_ge_i32 s11, s9
	s_cbranch_scc1 .LBB13_12
.LBB13_10:                              ; =>This Inner Loop Header: Depth=1
	v_add_nc_u32_e32 v3, s11, v8
	s_mov_b32 s15, exec_lo
	s_delay_alu instid0(VALU_DEP_1)
	v_cmpx_gt_i32_e64 s9, v3
	s_cbranch_execz .LBB13_9
; %bb.11:                               ;   in Loop: Header=BB13_10 Depth=1
	v_ashrrev_i32_e32 v4, 31, v3
	v_lshlrev_b64 v[9:10], 2, v[1:2]
	s_delay_alu instid0(VALU_DEP_2) | instskip(SKIP_1) | instid1(VALU_DEP_1)
	v_lshlrev_b64 v[3:4], 2, v[3:4]
	s_waitcnt lgkmcnt(0)
	v_add_co_u32 v3, vcc_lo, s4, v3
	s_delay_alu instid0(VALU_DEP_2) | instskip(NEXT) | instid1(VALU_DEP_4)
	v_add_co_ci_u32_e32 v4, vcc_lo, s5, v4, vcc_lo
	v_add_co_u32 v9, vcc_lo, s6, v9
	v_add_co_ci_u32_e32 v10, vcc_lo, s7, v10, vcc_lo
	global_load_b32 v3, v[3:4], off
	s_waitcnt vmcnt(0)
	v_subrev_nc_u32_e32 v3, s14, v3
	s_delay_alu instid0(VALU_DEP_1) | instskip(NEXT) | instid1(VALU_DEP_1)
	v_lshl_or_b32 v3, v3, 2, v7
	v_ashrrev_i32_e32 v4, 31, v3
	s_delay_alu instid0(VALU_DEP_1) | instskip(NEXT) | instid1(VALU_DEP_1)
	v_lshlrev_b64 v[3:4], 2, v[3:4]
	v_add_co_u32 v3, vcc_lo, s0, v3
	s_delay_alu instid0(VALU_DEP_2)
	v_add_co_ci_u32_e32 v4, vcc_lo, s1, v4, vcc_lo
	global_load_b32 v9, v[9:10], off
	global_load_b32 v3, v[3:4], off
	s_waitcnt vmcnt(0)
	v_fmac_f32_e32 v5, v9, v3
	s_branch .LBB13_9
.LBB13_12:
	s_set_inst_prefetch_distance 0x2
	v_lshlrev_b32_e32 v1, 2, v0
	s_and_b32 vcc_lo, exec_lo, s3
	ds_store_b32 v1, v5
	s_waitcnt lgkmcnt(0)
	s_barrier
	buffer_gl0_inv
	s_cbranch_vccz .LBB13_20
; %bb.13:
	s_mov_b32 s0, exec_lo
	v_cmpx_gt_u32_e32 2, v6
	s_cbranch_execz .LBB13_15
; %bb.14:
	ds_load_2addr_b32 v[2:3], v1 offset1:2
	s_waitcnt lgkmcnt(0)
	v_add_f32_e32 v2, v3, v2
	ds_store_b32 v1, v2
.LBB13_15:
	s_or_b32 exec_lo, exec_lo, s0
	s_delay_alu instid0(SALU_CYCLE_1)
	s_mov_b32 s0, exec_lo
	s_waitcnt lgkmcnt(0)
	s_barrier
	buffer_gl0_inv
	v_cmpx_eq_u32_e32 0, v6
	s_cbranch_execz .LBB13_17
; %bb.16:
	ds_load_2addr_b32 v[2:3], v1 offset1:1
	s_waitcnt lgkmcnt(0)
	v_add_f32_e32 v2, v3, v2
	ds_store_b32 v1, v2
.LBB13_17:
	s_or_b32 exec_lo, exec_lo, s0
	v_mov_b32_e32 v2, v5
	s_mov_b32 s0, exec_lo
	s_waitcnt lgkmcnt(0)
	s_barrier
	buffer_gl0_inv
	v_cmpx_gt_u32_e32 14, v0
	s_cbranch_execz .LBB13_19
; %bb.18:
	v_mad_u32_u24 v2, v0, 12, v1
	ds_load_b32 v2, v2
.LBB13_19:
	s_or_b32 exec_lo, exec_lo, s0
	s_branch .LBB13_28
.LBB13_20:
                                        ; implicit-def: $vgpr2
	s_cbranch_execz .LBB13_28
; %bb.21:
	s_mov_b32 s0, exec_lo
	v_cmpx_gt_u32_e32 28, v0
	s_cbranch_execz .LBB13_23
; %bb.22:
	s_waitcnt lgkmcnt(0)
	ds_load_2addr_b32 v[2:3], v1 offset1:28
	s_waitcnt lgkmcnt(0)
	v_add_f32_e32 v2, v3, v2
	ds_store_b32 v1, v2
.LBB13_23:
	s_or_b32 exec_lo, exec_lo, s0
	s_delay_alu instid0(SALU_CYCLE_1)
	s_mov_b32 s0, exec_lo
	s_waitcnt lgkmcnt(0)
	buffer_gl0_inv
	v_cmpx_lt_u32_e32 13, v0
	s_xor_b32 s0, exec_lo, s0
	s_cbranch_execz .LBB13_25
; %bb.24:
	buffer_gl0_inv
                                        ; implicit-def: $vgpr1
.LBB13_25:
	s_and_not1_saveexec_b32 s0, s0
	s_cbranch_execz .LBB13_27
; %bb.26:
	ds_load_2addr_b32 v[2:3], v1 offset1:14
	s_waitcnt lgkmcnt(0)
	v_add_f32_e32 v2, v3, v2
	ds_store_b32 v1, v2
	s_waitcnt lgkmcnt(0)
	buffer_gl0_inv
	ds_load_b32 v5, v1
.LBB13_27:
	s_or_b32 exec_lo, exec_lo, s0
	s_waitcnt lgkmcnt(0)
	v_mov_b32_e32 v2, v5
.LBB13_28:
	s_mov_b32 s0, exec_lo
	v_cmpx_gt_u32_e32 14, v0
	s_cbranch_execz .LBB13_32
; %bb.29:
	v_cmp_eq_f32_e64 s0, s2, 0
	s_waitcnt lgkmcnt(0)
	v_mul_f32_e32 v1, s10, v2
	s_delay_alu instid0(VALU_DEP_2)
	s_and_b32 vcc_lo, exec_lo, s0
	s_mov_b32 s0, 0
	s_cbranch_vccz .LBB13_33
; %bb.30:
	s_delay_alu instid0(VALU_DEP_1) | instskip(SKIP_1) | instid1(VALU_DEP_1)
	v_mad_u64_u32 v[2:3], null, s8, 14, v[0:1]
	v_mov_b32_e32 v3, 0
	v_lshlrev_b64 v[2:3], 2, v[2:3]
	s_delay_alu instid0(VALU_DEP_1) | instskip(NEXT) | instid1(VALU_DEP_2)
	v_add_co_u32 v2, vcc_lo, s12, v2
	v_add_co_ci_u32_e32 v3, vcc_lo, s13, v3, vcc_lo
	global_store_b32 v[2:3], v1, off
	s_and_not1_b32 vcc_lo, exec_lo, s0
	s_cbranch_vccnz .LBB13_32
.LBB13_31:
	v_mad_u64_u32 v[2:3], null, s8, 14, v[0:1]
	v_mov_b32_e32 v3, 0
	s_delay_alu instid0(VALU_DEP_1) | instskip(NEXT) | instid1(VALU_DEP_1)
	v_lshlrev_b64 v[2:3], 2, v[2:3]
	v_add_co_u32 v2, vcc_lo, s12, v2
	s_delay_alu instid0(VALU_DEP_2)
	v_add_co_ci_u32_e32 v3, vcc_lo, s13, v3, vcc_lo
	global_load_b32 v0, v[2:3], off
	s_waitcnt vmcnt(0)
	v_fmac_f32_e32 v1, s2, v0
	global_store_b32 v[2:3], v1, off
.LBB13_32:
	s_nop 0
	s_sendmsg sendmsg(MSG_DEALLOC_VGPRS)
	s_endpgm
.LBB13_33:
	s_branch .LBB13_31
	.section	.rodata,"a",@progbits
	.p2align	6, 0x0
	.amdhsa_kernel _ZN9rocsparseL22gebsrmvn_mxn_16_kernelILj56ELj14ELj4EfEEvi20rocsparse_direction_NS_24const_host_device_scalarIT2_EEPKiS6_PKS3_iiS8_S4_PS3_21rocsparse_index_base_b
		.amdhsa_group_segment_fixed_size 224
		.amdhsa_private_segment_fixed_size 0
		.amdhsa_kernarg_size 80
		.amdhsa_user_sgpr_count 15
		.amdhsa_user_sgpr_dispatch_ptr 0
		.amdhsa_user_sgpr_queue_ptr 0
		.amdhsa_user_sgpr_kernarg_segment_ptr 1
		.amdhsa_user_sgpr_dispatch_id 0
		.amdhsa_user_sgpr_private_segment_size 0
		.amdhsa_wavefront_size32 1
		.amdhsa_uses_dynamic_stack 0
		.amdhsa_enable_private_segment 0
		.amdhsa_system_sgpr_workgroup_id_x 1
		.amdhsa_system_sgpr_workgroup_id_y 0
		.amdhsa_system_sgpr_workgroup_id_z 0
		.amdhsa_system_sgpr_workgroup_info 0
		.amdhsa_system_vgpr_workitem_id 0
		.amdhsa_next_free_vgpr 11
		.amdhsa_next_free_sgpr 18
		.amdhsa_reserve_vcc 1
		.amdhsa_float_round_mode_32 0
		.amdhsa_float_round_mode_16_64 0
		.amdhsa_float_denorm_mode_32 3
		.amdhsa_float_denorm_mode_16_64 3
		.amdhsa_dx10_clamp 1
		.amdhsa_ieee_mode 1
		.amdhsa_fp16_overflow 0
		.amdhsa_workgroup_processor_mode 1
		.amdhsa_memory_ordered 1
		.amdhsa_forward_progress 0
		.amdhsa_shared_vgpr_count 0
		.amdhsa_exception_fp_ieee_invalid_op 0
		.amdhsa_exception_fp_denorm_src 0
		.amdhsa_exception_fp_ieee_div_zero 0
		.amdhsa_exception_fp_ieee_overflow 0
		.amdhsa_exception_fp_ieee_underflow 0
		.amdhsa_exception_fp_ieee_inexact 0
		.amdhsa_exception_int_div_zero 0
	.end_amdhsa_kernel
	.section	.text._ZN9rocsparseL22gebsrmvn_mxn_16_kernelILj56ELj14ELj4EfEEvi20rocsparse_direction_NS_24const_host_device_scalarIT2_EEPKiS6_PKS3_iiS8_S4_PS3_21rocsparse_index_base_b,"axG",@progbits,_ZN9rocsparseL22gebsrmvn_mxn_16_kernelILj56ELj14ELj4EfEEvi20rocsparse_direction_NS_24const_host_device_scalarIT2_EEPKiS6_PKS3_iiS8_S4_PS3_21rocsparse_index_base_b,comdat
.Lfunc_end13:
	.size	_ZN9rocsparseL22gebsrmvn_mxn_16_kernelILj56ELj14ELj4EfEEvi20rocsparse_direction_NS_24const_host_device_scalarIT2_EEPKiS6_PKS3_iiS8_S4_PS3_21rocsparse_index_base_b, .Lfunc_end13-_ZN9rocsparseL22gebsrmvn_mxn_16_kernelILj56ELj14ELj4EfEEvi20rocsparse_direction_NS_24const_host_device_scalarIT2_EEPKiS6_PKS3_iiS8_S4_PS3_21rocsparse_index_base_b
                                        ; -- End function
	.section	.AMDGPU.csdata,"",@progbits
; Kernel info:
; codeLenInByte = 1040
; NumSgprs: 20
; NumVgprs: 11
; ScratchSize: 0
; MemoryBound: 0
; FloatMode: 240
; IeeeMode: 1
; LDSByteSize: 224 bytes/workgroup (compile time only)
; SGPRBlocks: 2
; VGPRBlocks: 1
; NumSGPRsForWavesPerEU: 20
; NumVGPRsForWavesPerEU: 11
; Occupancy: 16
; WaveLimiterHint : 1
; COMPUTE_PGM_RSRC2:SCRATCH_EN: 0
; COMPUTE_PGM_RSRC2:USER_SGPR: 15
; COMPUTE_PGM_RSRC2:TRAP_HANDLER: 0
; COMPUTE_PGM_RSRC2:TGID_X_EN: 1
; COMPUTE_PGM_RSRC2:TGID_Y_EN: 0
; COMPUTE_PGM_RSRC2:TGID_Z_EN: 0
; COMPUTE_PGM_RSRC2:TIDIG_COMP_CNT: 0
	.section	.text._ZN9rocsparseL22gebsrmvn_mxn_16_kernelILj70ELj14ELj5EfEEvi20rocsparse_direction_NS_24const_host_device_scalarIT2_EEPKiS6_PKS3_iiS8_S4_PS3_21rocsparse_index_base_b,"axG",@progbits,_ZN9rocsparseL22gebsrmvn_mxn_16_kernelILj70ELj14ELj5EfEEvi20rocsparse_direction_NS_24const_host_device_scalarIT2_EEPKiS6_PKS3_iiS8_S4_PS3_21rocsparse_index_base_b,comdat
	.globl	_ZN9rocsparseL22gebsrmvn_mxn_16_kernelILj70ELj14ELj5EfEEvi20rocsparse_direction_NS_24const_host_device_scalarIT2_EEPKiS6_PKS3_iiS8_S4_PS3_21rocsparse_index_base_b ; -- Begin function _ZN9rocsparseL22gebsrmvn_mxn_16_kernelILj70ELj14ELj5EfEEvi20rocsparse_direction_NS_24const_host_device_scalarIT2_EEPKiS6_PKS3_iiS8_S4_PS3_21rocsparse_index_base_b
	.p2align	8
	.type	_ZN9rocsparseL22gebsrmvn_mxn_16_kernelILj70ELj14ELj5EfEEvi20rocsparse_direction_NS_24const_host_device_scalarIT2_EEPKiS6_PKS3_iiS8_S4_PS3_21rocsparse_index_base_b,@function
_ZN9rocsparseL22gebsrmvn_mxn_16_kernelILj70ELj14ELj5EfEEvi20rocsparse_direction_NS_24const_host_device_scalarIT2_EEPKiS6_PKS3_iiS8_S4_PS3_21rocsparse_index_base_b: ; @_ZN9rocsparseL22gebsrmvn_mxn_16_kernelILj70ELj14ELj5EfEEvi20rocsparse_direction_NS_24const_host_device_scalarIT2_EEPKiS6_PKS3_iiS8_S4_PS3_21rocsparse_index_base_b
; %bb.0:
	s_mov_b32 s8, s15
	s_clause 0x2
	s_load_b64 s[14:15], s[0:1], 0x48
	s_load_b64 s[10:11], s[0:1], 0x8
	;; [unrolled: 1-line block ×3, first 2 shown]
	s_waitcnt lgkmcnt(0)
	s_bitcmp1_b32 s15, 0
	s_cselect_b32 s4, -1, 0
	s_delay_alu instid0(SALU_CYCLE_1)
	s_and_b32 vcc_lo, exec_lo, s4
	s_xor_b32 s4, s4, -1
	s_cbranch_vccnz .LBB14_2
; %bb.1:
	s_load_b32 s10, s[10:11], 0x0
.LBB14_2:
	s_and_not1_b32 vcc_lo, exec_lo, s4
	s_cbranch_vccnz .LBB14_4
; %bb.3:
	s_load_b32 s2, s[2:3], 0x0
.LBB14_4:
	s_waitcnt lgkmcnt(0)
	v_cmp_eq_f32_e64 s3, s10, 0
	v_cmp_eq_f32_e64 s4, s2, 1.0
	s_delay_alu instid0(VALU_DEP_1) | instskip(NEXT) | instid1(SALU_CYCLE_1)
	s_and_b32 s3, s3, s4
	s_and_b32 vcc_lo, exec_lo, s3
	s_cbranch_vccnz .LBB14_36
; %bb.5:
	v_mul_u32_u24_e32 v1, 0x3334, v0
	s_clause 0x1
	s_load_b32 s3, s[0:1], 0x4
	s_load_b64 s[4:5], s[0:1], 0x10
	s_delay_alu instid0(VALU_DEP_1) | instskip(NEXT) | instid1(VALU_DEP_1)
	v_lshrrev_b32_e32 v1, 16, v1
	v_mul_lo_u16 v1, v1, 5
	s_delay_alu instid0(VALU_DEP_1) | instskip(NEXT) | instid1(VALU_DEP_1)
	v_sub_nc_u16 v1, v0, v1
	v_and_b32_e32 v7, 0xffff, v1
	s_waitcnt lgkmcnt(0)
	s_cmp_lg_u32 s3, 1
	v_and_b32_e32 v2, 0xffff, v0
	s_cselect_b32 s3, -1, 0
	v_mov_b32_e32 v1, v7
	s_and_b32 vcc_lo, exec_lo, s3
	s_cbranch_vccnz .LBB14_7
; %bb.6:
	v_mul_u32_u24_e32 v1, 0x124a, v2
	s_delay_alu instid0(VALU_DEP_1) | instskip(NEXT) | instid1(VALU_DEP_1)
	v_lshrrev_b32_e32 v1, 16, v1
	v_mul_lo_u16 v3, v1, 52
	s_delay_alu instid0(VALU_DEP_1) | instskip(NEXT) | instid1(VALU_DEP_1)
	v_lshrrev_b16 v3, 8, v3
	v_mul_lo_u16 v3, v3, 5
	s_delay_alu instid0(VALU_DEP_1) | instskip(NEXT) | instid1(VALU_DEP_1)
	v_sub_nc_u16 v1, v1, v3
	v_and_b32_e32 v1, 0xff, v1
.LBB14_7:
	s_ashr_i32 s9, s8, 31
	v_mov_b32_e32 v6, 0
	s_lshl_b64 s[6:7], s[8:9], 2
	s_delay_alu instid0(SALU_CYCLE_1)
	s_add_u32 s4, s4, s6
	s_addc_u32 s5, s5, s7
	s_load_b64 s[16:17], s[4:5], 0x0
	s_load_b64 s[12:13], s[0:1], 0x40
	s_waitcnt lgkmcnt(0)
	s_cmp_ge_i32 s16, s17
	s_cbranch_scc1 .LBB14_12
; %bb.8:
	s_clause 0x1
	s_load_b128 s[4:7], s[0:1], 0x18
	s_load_b64 s[0:1], s[0:1], 0x30
	v_mad_u64_u32 v[4:5], null, 0x46, s16, v[0:1]
	v_mul_u32_u24_e32 v2, 0x3a9, v2
	v_mov_b32_e32 v3, 0
	s_mul_i32 s9, s14, 0x46
	s_sub_i32 s11, s16, s14
	s_delay_alu instid0(VALU_DEP_2) | instskip(NEXT) | instid1(VALU_DEP_4)
	v_lshrrev_b32_e32 v8, 16, v2
	v_subrev_nc_u32_e32 v2, s9, v4
	v_mov_b32_e32 v6, v3
	s_sub_i32 s9, s17, s14
	s_set_inst_prefetch_distance 0x1
	s_branch .LBB14_10
	.p2align	6
.LBB14_9:                               ;   in Loop: Header=BB14_10 Depth=1
	s_or_b32 exec_lo, exec_lo, s15
	v_add_nc_u32_e32 v2, 0x46, v2
	s_add_i32 s11, s11, 1
	s_delay_alu instid0(SALU_CYCLE_1)
	s_cmp_ge_i32 s11, s9
	s_cbranch_scc1 .LBB14_12
.LBB14_10:                              ; =>This Inner Loop Header: Depth=1
	v_add_nc_u32_e32 v4, s11, v8
	s_mov_b32 s15, exec_lo
	s_delay_alu instid0(VALU_DEP_1)
	v_cmpx_gt_i32_e64 s9, v4
	s_cbranch_execz .LBB14_9
; %bb.11:                               ;   in Loop: Header=BB14_10 Depth=1
	v_ashrrev_i32_e32 v5, 31, v4
	s_delay_alu instid0(VALU_DEP_1) | instskip(SKIP_1) | instid1(VALU_DEP_1)
	v_lshlrev_b64 v[4:5], 2, v[4:5]
	s_waitcnt lgkmcnt(0)
	v_add_co_u32 v4, vcc_lo, s4, v4
	s_delay_alu instid0(VALU_DEP_2) | instskip(SKIP_3) | instid1(VALU_DEP_1)
	v_add_co_ci_u32_e32 v5, vcc_lo, s5, v5, vcc_lo
	global_load_b32 v4, v[4:5], off
	s_waitcnt vmcnt(0)
	v_subrev_nc_u32_e32 v9, s14, v4
	v_mad_u64_u32 v[4:5], null, v9, 5, v[1:2]
	v_lshlrev_b64 v[9:10], 2, v[2:3]
	s_delay_alu instid0(VALU_DEP_1) | instskip(NEXT) | instid1(VALU_DEP_3)
	v_add_co_u32 v9, vcc_lo, s6, v9
	v_ashrrev_i32_e32 v5, 31, v4
	s_delay_alu instid0(VALU_DEP_3) | instskip(NEXT) | instid1(VALU_DEP_2)
	v_add_co_ci_u32_e32 v10, vcc_lo, s7, v10, vcc_lo
	v_lshlrev_b64 v[4:5], 2, v[4:5]
	s_delay_alu instid0(VALU_DEP_1) | instskip(NEXT) | instid1(VALU_DEP_2)
	v_add_co_u32 v4, vcc_lo, s0, v4
	v_add_co_ci_u32_e32 v5, vcc_lo, s1, v5, vcc_lo
	global_load_b32 v9, v[9:10], off
	global_load_b32 v4, v[4:5], off
	s_waitcnt vmcnt(0)
	v_fmac_f32_e32 v6, v9, v4
	s_branch .LBB14_9
.LBB14_12:
	s_set_inst_prefetch_distance 0x2
	v_lshlrev_b32_e32 v1, 2, v0
	s_and_b32 vcc_lo, exec_lo, s3
	ds_store_b32 v1, v6
	s_waitcnt lgkmcnt(0)
	s_barrier
	buffer_gl0_inv
	s_cbranch_vccz .LBB14_22
; %bb.13:
	v_cmp_eq_u16_e32 vcc_lo, 0, v7
	s_and_saveexec_b32 s0, vcc_lo
	s_cbranch_execz .LBB14_15
; %bb.14:
	ds_load_2addr_b32 v[2:3], v1 offset1:4
	s_waitcnt lgkmcnt(0)
	v_add_f32_e32 v2, v3, v2
	ds_store_b32 v1, v2
.LBB14_15:
	s_or_b32 exec_lo, exec_lo, s0
	s_delay_alu instid0(SALU_CYCLE_1)
	s_mov_b32 s1, exec_lo
	s_waitcnt lgkmcnt(0)
	s_barrier
	buffer_gl0_inv
	v_cmpx_gt_u16_e32 2, v7
	s_cbranch_execz .LBB14_17
; %bb.16:
	ds_load_2addr_b32 v[2:3], v1 offset1:2
	s_waitcnt lgkmcnt(0)
	v_add_f32_e32 v2, v3, v2
	ds_store_b32 v1, v2
.LBB14_17:
	s_or_b32 exec_lo, exec_lo, s1
	s_waitcnt lgkmcnt(0)
	s_barrier
	buffer_gl0_inv
	s_and_saveexec_b32 s0, vcc_lo
	s_cbranch_execz .LBB14_19
; %bb.18:
	ds_load_2addr_b32 v[2:3], v1 offset1:1
	s_waitcnt lgkmcnt(0)
	v_add_f32_e32 v2, v3, v2
	ds_store_b32 v1, v2
.LBB14_19:
	s_or_b32 exec_lo, exec_lo, s0
	v_mov_b32_e32 v2, v6
	s_mov_b32 s0, exec_lo
	s_waitcnt lgkmcnt(0)
	s_barrier
	buffer_gl0_inv
	v_cmpx_gt_u32_e32 14, v0
	s_cbranch_execz .LBB14_21
; %bb.20:
	v_lshl_add_u32 v2, v0, 4, v1
	ds_load_b32 v2, v2
.LBB14_21:
	s_or_b32 exec_lo, exec_lo, s0
	v_cmp_gt_u32_e64 s0, 14, v0
	s_branch .LBB14_32
.LBB14_22:
                                        ; implicit-def: $vgpr2
	v_cmp_gt_u32_e64 s0, 14, v0
	s_cbranch_execz .LBB14_32
; %bb.23:
	v_cmp_lt_u32_e32 vcc_lo, 13, v0
	s_delay_alu instid0(VALU_DEP_2)
	s_and_saveexec_b32 s1, s0
	s_cbranch_execz .LBB14_25
; %bb.24:
	s_waitcnt lgkmcnt(0)
	ds_load_2addr_b32 v[2:3], v1 offset1:56
	s_waitcnt lgkmcnt(0)
	v_add_f32_e32 v2, v3, v2
	ds_store_b32 v1, v2
.LBB14_25:
	s_or_b32 exec_lo, exec_lo, s1
	s_delay_alu instid0(SALU_CYCLE_1)
	s_mov_b32 s1, exec_lo
	s_waitcnt lgkmcnt(0)
	s_barrier
	buffer_gl0_inv
	v_cmpx_gt_u32_e32 28, v0
	s_cbranch_execz .LBB14_27
; %bb.26:
	ds_load_2addr_b32 v[2:3], v1 offset1:28
	s_waitcnt lgkmcnt(0)
	v_add_f32_e32 v2, v3, v2
	ds_store_b32 v1, v2
.LBB14_27:
	s_or_b32 exec_lo, exec_lo, s1
	s_waitcnt lgkmcnt(0)
	buffer_gl0_inv
	s_and_saveexec_b32 s0, vcc_lo
	s_delay_alu instid0(SALU_CYCLE_1)
	s_xor_b32 s0, exec_lo, s0
	s_cbranch_execz .LBB14_29
; %bb.28:
	buffer_gl0_inv
                                        ; implicit-def: $vgpr1
.LBB14_29:
	s_and_not1_saveexec_b32 s0, s0
	s_cbranch_execz .LBB14_31
; %bb.30:
	ds_load_2addr_b32 v[2:3], v1 offset1:14
	s_waitcnt lgkmcnt(0)
	v_add_f32_e32 v2, v3, v2
	ds_store_b32 v1, v2
	s_waitcnt lgkmcnt(0)
	buffer_gl0_inv
	ds_load_b32 v6, v1
.LBB14_31:
	s_or_b32 exec_lo, exec_lo, s0
	s_waitcnt lgkmcnt(0)
	v_mov_b32_e32 v2, v6
.LBB14_32:
	s_mov_b32 s0, exec_lo
	v_cmpx_gt_u32_e32 14, v0
	s_cbranch_execz .LBB14_36
; %bb.33:
	v_cmp_eq_f32_e64 s0, s2, 0
	s_waitcnt lgkmcnt(0)
	v_mul_f32_e32 v1, s10, v2
	s_delay_alu instid0(VALU_DEP_2)
	s_and_b32 vcc_lo, exec_lo, s0
	s_mov_b32 s0, 0
	s_cbranch_vccz .LBB14_37
; %bb.34:
	s_delay_alu instid0(VALU_DEP_1) | instskip(SKIP_1) | instid1(VALU_DEP_1)
	v_mad_u64_u32 v[2:3], null, s8, 14, v[0:1]
	v_mov_b32_e32 v3, 0
	v_lshlrev_b64 v[2:3], 2, v[2:3]
	s_delay_alu instid0(VALU_DEP_1) | instskip(NEXT) | instid1(VALU_DEP_2)
	v_add_co_u32 v2, vcc_lo, s12, v2
	v_add_co_ci_u32_e32 v3, vcc_lo, s13, v3, vcc_lo
	global_store_b32 v[2:3], v1, off
	s_and_not1_b32 vcc_lo, exec_lo, s0
	s_cbranch_vccnz .LBB14_36
.LBB14_35:
	v_mad_u64_u32 v[2:3], null, s8, 14, v[0:1]
	v_mov_b32_e32 v3, 0
	s_delay_alu instid0(VALU_DEP_1) | instskip(NEXT) | instid1(VALU_DEP_1)
	v_lshlrev_b64 v[2:3], 2, v[2:3]
	v_add_co_u32 v2, vcc_lo, s12, v2
	s_delay_alu instid0(VALU_DEP_2)
	v_add_co_ci_u32_e32 v3, vcc_lo, s13, v3, vcc_lo
	global_load_b32 v0, v[2:3], off
	s_waitcnt vmcnt(0)
	v_fmac_f32_e32 v1, s2, v0
	global_store_b32 v[2:3], v1, off
.LBB14_36:
	s_nop 0
	s_sendmsg sendmsg(MSG_DEALLOC_VGPRS)
	s_endpgm
.LBB14_37:
	s_branch .LBB14_35
	.section	.rodata,"a",@progbits
	.p2align	6, 0x0
	.amdhsa_kernel _ZN9rocsparseL22gebsrmvn_mxn_16_kernelILj70ELj14ELj5EfEEvi20rocsparse_direction_NS_24const_host_device_scalarIT2_EEPKiS6_PKS3_iiS8_S4_PS3_21rocsparse_index_base_b
		.amdhsa_group_segment_fixed_size 280
		.amdhsa_private_segment_fixed_size 0
		.amdhsa_kernarg_size 80
		.amdhsa_user_sgpr_count 15
		.amdhsa_user_sgpr_dispatch_ptr 0
		.amdhsa_user_sgpr_queue_ptr 0
		.amdhsa_user_sgpr_kernarg_segment_ptr 1
		.amdhsa_user_sgpr_dispatch_id 0
		.amdhsa_user_sgpr_private_segment_size 0
		.amdhsa_wavefront_size32 1
		.amdhsa_uses_dynamic_stack 0
		.amdhsa_enable_private_segment 0
		.amdhsa_system_sgpr_workgroup_id_x 1
		.amdhsa_system_sgpr_workgroup_id_y 0
		.amdhsa_system_sgpr_workgroup_id_z 0
		.amdhsa_system_sgpr_workgroup_info 0
		.amdhsa_system_vgpr_workitem_id 0
		.amdhsa_next_free_vgpr 11
		.amdhsa_next_free_sgpr 18
		.amdhsa_reserve_vcc 1
		.amdhsa_float_round_mode_32 0
		.amdhsa_float_round_mode_16_64 0
		.amdhsa_float_denorm_mode_32 3
		.amdhsa_float_denorm_mode_16_64 3
		.amdhsa_dx10_clamp 1
		.amdhsa_ieee_mode 1
		.amdhsa_fp16_overflow 0
		.amdhsa_workgroup_processor_mode 1
		.amdhsa_memory_ordered 1
		.amdhsa_forward_progress 0
		.amdhsa_shared_vgpr_count 0
		.amdhsa_exception_fp_ieee_invalid_op 0
		.amdhsa_exception_fp_denorm_src 0
		.amdhsa_exception_fp_ieee_div_zero 0
		.amdhsa_exception_fp_ieee_overflow 0
		.amdhsa_exception_fp_ieee_underflow 0
		.amdhsa_exception_fp_ieee_inexact 0
		.amdhsa_exception_int_div_zero 0
	.end_amdhsa_kernel
	.section	.text._ZN9rocsparseL22gebsrmvn_mxn_16_kernelILj70ELj14ELj5EfEEvi20rocsparse_direction_NS_24const_host_device_scalarIT2_EEPKiS6_PKS3_iiS8_S4_PS3_21rocsparse_index_base_b,"axG",@progbits,_ZN9rocsparseL22gebsrmvn_mxn_16_kernelILj70ELj14ELj5EfEEvi20rocsparse_direction_NS_24const_host_device_scalarIT2_EEPKiS6_PKS3_iiS8_S4_PS3_21rocsparse_index_base_b,comdat
.Lfunc_end14:
	.size	_ZN9rocsparseL22gebsrmvn_mxn_16_kernelILj70ELj14ELj5EfEEvi20rocsparse_direction_NS_24const_host_device_scalarIT2_EEPKiS6_PKS3_iiS8_S4_PS3_21rocsparse_index_base_b, .Lfunc_end14-_ZN9rocsparseL22gebsrmvn_mxn_16_kernelILj70ELj14ELj5EfEEvi20rocsparse_direction_NS_24const_host_device_scalarIT2_EEPKiS6_PKS3_iiS8_S4_PS3_21rocsparse_index_base_b
                                        ; -- End function
	.section	.AMDGPU.csdata,"",@progbits
; Kernel info:
; codeLenInByte = 1268
; NumSgprs: 20
; NumVgprs: 11
; ScratchSize: 0
; MemoryBound: 0
; FloatMode: 240
; IeeeMode: 1
; LDSByteSize: 280 bytes/workgroup (compile time only)
; SGPRBlocks: 2
; VGPRBlocks: 1
; NumSGPRsForWavesPerEU: 20
; NumVGPRsForWavesPerEU: 11
; Occupancy: 16
; WaveLimiterHint : 1
; COMPUTE_PGM_RSRC2:SCRATCH_EN: 0
; COMPUTE_PGM_RSRC2:USER_SGPR: 15
; COMPUTE_PGM_RSRC2:TRAP_HANDLER: 0
; COMPUTE_PGM_RSRC2:TGID_X_EN: 1
; COMPUTE_PGM_RSRC2:TGID_Y_EN: 0
; COMPUTE_PGM_RSRC2:TGID_Z_EN: 0
; COMPUTE_PGM_RSRC2:TIDIG_COMP_CNT: 0
	.section	.text._ZN9rocsparseL22gebsrmvn_mxn_16_kernelILj84ELj14ELj6EfEEvi20rocsparse_direction_NS_24const_host_device_scalarIT2_EEPKiS6_PKS3_iiS8_S4_PS3_21rocsparse_index_base_b,"axG",@progbits,_ZN9rocsparseL22gebsrmvn_mxn_16_kernelILj84ELj14ELj6EfEEvi20rocsparse_direction_NS_24const_host_device_scalarIT2_EEPKiS6_PKS3_iiS8_S4_PS3_21rocsparse_index_base_b,comdat
	.globl	_ZN9rocsparseL22gebsrmvn_mxn_16_kernelILj84ELj14ELj6EfEEvi20rocsparse_direction_NS_24const_host_device_scalarIT2_EEPKiS6_PKS3_iiS8_S4_PS3_21rocsparse_index_base_b ; -- Begin function _ZN9rocsparseL22gebsrmvn_mxn_16_kernelILj84ELj14ELj6EfEEvi20rocsparse_direction_NS_24const_host_device_scalarIT2_EEPKiS6_PKS3_iiS8_S4_PS3_21rocsparse_index_base_b
	.p2align	8
	.type	_ZN9rocsparseL22gebsrmvn_mxn_16_kernelILj84ELj14ELj6EfEEvi20rocsparse_direction_NS_24const_host_device_scalarIT2_EEPKiS6_PKS3_iiS8_S4_PS3_21rocsparse_index_base_b,@function
_ZN9rocsparseL22gebsrmvn_mxn_16_kernelILj84ELj14ELj6EfEEvi20rocsparse_direction_NS_24const_host_device_scalarIT2_EEPKiS6_PKS3_iiS8_S4_PS3_21rocsparse_index_base_b: ; @_ZN9rocsparseL22gebsrmvn_mxn_16_kernelILj84ELj14ELj6EfEEvi20rocsparse_direction_NS_24const_host_device_scalarIT2_EEPKiS6_PKS3_iiS8_S4_PS3_21rocsparse_index_base_b
; %bb.0:
	s_mov_b32 s8, s15
	s_clause 0x2
	s_load_b64 s[14:15], s[0:1], 0x48
	s_load_b64 s[10:11], s[0:1], 0x8
	;; [unrolled: 1-line block ×3, first 2 shown]
	s_waitcnt lgkmcnt(0)
	s_bitcmp1_b32 s15, 0
	s_cselect_b32 s4, -1, 0
	s_delay_alu instid0(SALU_CYCLE_1)
	s_and_b32 vcc_lo, exec_lo, s4
	s_xor_b32 s4, s4, -1
	s_cbranch_vccnz .LBB15_2
; %bb.1:
	s_load_b32 s10, s[10:11], 0x0
.LBB15_2:
	s_and_not1_b32 vcc_lo, exec_lo, s4
	s_cbranch_vccnz .LBB15_4
; %bb.3:
	s_load_b32 s2, s[2:3], 0x0
.LBB15_4:
	s_waitcnt lgkmcnt(0)
	v_cmp_eq_f32_e64 s3, s10, 0
	v_cmp_eq_f32_e64 s4, s2, 1.0
	s_delay_alu instid0(VALU_DEP_1) | instskip(NEXT) | instid1(SALU_CYCLE_1)
	s_and_b32 s3, s3, s4
	s_and_b32 vcc_lo, exec_lo, s3
	s_cbranch_vccnz .LBB15_36
; %bb.5:
	v_mul_u32_u24_e32 v1, 0x2aab, v0
	s_clause 0x1
	s_load_b32 s3, s[0:1], 0x4
	s_load_b64 s[4:5], s[0:1], 0x10
	s_delay_alu instid0(VALU_DEP_1) | instskip(NEXT) | instid1(VALU_DEP_1)
	v_lshrrev_b32_e32 v1, 16, v1
	v_mul_lo_u16 v1, v1, 6
	s_delay_alu instid0(VALU_DEP_1) | instskip(NEXT) | instid1(VALU_DEP_1)
	v_sub_nc_u16 v1, v0, v1
	v_and_b32_e32 v7, 0xffff, v1
	s_waitcnt lgkmcnt(0)
	s_cmp_lg_u32 s3, 1
	v_and_b32_e32 v2, 0xffff, v0
	s_cselect_b32 s3, -1, 0
	v_mov_b32_e32 v1, v7
	s_and_b32 vcc_lo, exec_lo, s3
	s_cbranch_vccnz .LBB15_7
; %bb.6:
	v_mul_u32_u24_e32 v1, 0x124a, v2
	s_delay_alu instid0(VALU_DEP_1) | instskip(NEXT) | instid1(VALU_DEP_1)
	v_lshrrev_b32_e32 v1, 16, v1
	v_mul_lo_u16 v3, v1, 43
	s_delay_alu instid0(VALU_DEP_1) | instskip(NEXT) | instid1(VALU_DEP_1)
	v_lshrrev_b16 v3, 8, v3
	v_mul_lo_u16 v3, v3, 6
	s_delay_alu instid0(VALU_DEP_1) | instskip(NEXT) | instid1(VALU_DEP_1)
	v_sub_nc_u16 v1, v1, v3
	v_and_b32_e32 v1, 0xff, v1
.LBB15_7:
	s_ashr_i32 s9, s8, 31
	v_mov_b32_e32 v6, 0
	s_lshl_b64 s[6:7], s[8:9], 2
	s_delay_alu instid0(SALU_CYCLE_1)
	s_add_u32 s4, s4, s6
	s_addc_u32 s5, s5, s7
	s_load_b64 s[16:17], s[4:5], 0x0
	s_load_b64 s[12:13], s[0:1], 0x40
	s_waitcnt lgkmcnt(0)
	s_cmp_ge_i32 s16, s17
	s_cbranch_scc1 .LBB15_12
; %bb.8:
	s_clause 0x1
	s_load_b128 s[4:7], s[0:1], 0x18
	s_load_b64 s[0:1], s[0:1], 0x30
	v_mad_u64_u32 v[4:5], null, 0x54, s16, v[0:1]
	v_mul_u32_u24_e32 v2, 0x30d, v2
	v_mov_b32_e32 v3, 0
	s_mul_i32 s9, s14, 0x54
	s_sub_i32 s11, s16, s14
	s_delay_alu instid0(VALU_DEP_2) | instskip(NEXT) | instid1(VALU_DEP_4)
	v_lshrrev_b32_e32 v8, 16, v2
	v_subrev_nc_u32_e32 v2, s9, v4
	v_mov_b32_e32 v6, v3
	s_sub_i32 s9, s17, s14
	s_set_inst_prefetch_distance 0x1
	s_branch .LBB15_10
	.p2align	6
.LBB15_9:                               ;   in Loop: Header=BB15_10 Depth=1
	s_or_b32 exec_lo, exec_lo, s15
	v_add_nc_u32_e32 v2, 0x54, v2
	s_add_i32 s11, s11, 1
	s_delay_alu instid0(SALU_CYCLE_1)
	s_cmp_ge_i32 s11, s9
	s_cbranch_scc1 .LBB15_12
.LBB15_10:                              ; =>This Inner Loop Header: Depth=1
	v_add_nc_u32_e32 v4, s11, v8
	s_mov_b32 s15, exec_lo
	s_delay_alu instid0(VALU_DEP_1)
	v_cmpx_gt_i32_e64 s9, v4
	s_cbranch_execz .LBB15_9
; %bb.11:                               ;   in Loop: Header=BB15_10 Depth=1
	v_ashrrev_i32_e32 v5, 31, v4
	s_delay_alu instid0(VALU_DEP_1) | instskip(SKIP_1) | instid1(VALU_DEP_1)
	v_lshlrev_b64 v[4:5], 2, v[4:5]
	s_waitcnt lgkmcnt(0)
	v_add_co_u32 v4, vcc_lo, s4, v4
	s_delay_alu instid0(VALU_DEP_2) | instskip(SKIP_3) | instid1(VALU_DEP_1)
	v_add_co_ci_u32_e32 v5, vcc_lo, s5, v5, vcc_lo
	global_load_b32 v4, v[4:5], off
	s_waitcnt vmcnt(0)
	v_subrev_nc_u32_e32 v9, s14, v4
	v_mad_u64_u32 v[4:5], null, v9, 6, v[1:2]
	v_lshlrev_b64 v[9:10], 2, v[2:3]
	s_delay_alu instid0(VALU_DEP_1) | instskip(NEXT) | instid1(VALU_DEP_3)
	v_add_co_u32 v9, vcc_lo, s6, v9
	v_ashrrev_i32_e32 v5, 31, v4
	s_delay_alu instid0(VALU_DEP_3) | instskip(NEXT) | instid1(VALU_DEP_2)
	v_add_co_ci_u32_e32 v10, vcc_lo, s7, v10, vcc_lo
	v_lshlrev_b64 v[4:5], 2, v[4:5]
	s_delay_alu instid0(VALU_DEP_1) | instskip(NEXT) | instid1(VALU_DEP_2)
	v_add_co_u32 v4, vcc_lo, s0, v4
	v_add_co_ci_u32_e32 v5, vcc_lo, s1, v5, vcc_lo
	global_load_b32 v9, v[9:10], off
	global_load_b32 v4, v[4:5], off
	s_waitcnt vmcnt(0)
	v_fmac_f32_e32 v6, v9, v4
	s_branch .LBB15_9
.LBB15_12:
	s_set_inst_prefetch_distance 0x2
	v_lshlrev_b32_e32 v1, 2, v0
	s_and_b32 vcc_lo, exec_lo, s3
	ds_store_b32 v1, v6
	s_waitcnt lgkmcnt(0)
	s_barrier
	buffer_gl0_inv
	s_cbranch_vccz .LBB15_22
; %bb.13:
	v_cmp_gt_u16_e32 vcc_lo, 2, v7
	s_and_saveexec_b32 s0, vcc_lo
	s_cbranch_execz .LBB15_15
; %bb.14:
	ds_load_2addr_b32 v[2:3], v1 offset1:4
	s_waitcnt lgkmcnt(0)
	v_add_f32_e32 v2, v3, v2
	ds_store_b32 v1, v2
.LBB15_15:
	s_or_b32 exec_lo, exec_lo, s0
	s_waitcnt lgkmcnt(0)
	s_barrier
	buffer_gl0_inv
	s_and_saveexec_b32 s0, vcc_lo
	s_cbranch_execz .LBB15_17
; %bb.16:
	ds_load_2addr_b32 v[2:3], v1 offset1:2
	s_waitcnt lgkmcnt(0)
	v_add_f32_e32 v2, v3, v2
	ds_store_b32 v1, v2
.LBB15_17:
	s_or_b32 exec_lo, exec_lo, s0
	s_delay_alu instid0(SALU_CYCLE_1)
	s_mov_b32 s0, exec_lo
	s_waitcnt lgkmcnt(0)
	s_barrier
	buffer_gl0_inv
	v_cmpx_eq_u16_e32 0, v7
	s_cbranch_execz .LBB15_19
; %bb.18:
	ds_load_2addr_b32 v[2:3], v1 offset1:1
	s_waitcnt lgkmcnt(0)
	v_add_f32_e32 v2, v3, v2
	ds_store_b32 v1, v2
.LBB15_19:
	s_or_b32 exec_lo, exec_lo, s0
	v_mov_b32_e32 v2, v6
	s_mov_b32 s0, exec_lo
	s_waitcnt lgkmcnt(0)
	s_barrier
	buffer_gl0_inv
	v_cmpx_gt_u32_e32 14, v0
	s_cbranch_execz .LBB15_21
; %bb.20:
	v_mad_u32_u24 v2, v0, 20, v1
	ds_load_b32 v2, v2
.LBB15_21:
	s_or_b32 exec_lo, exec_lo, s0
	s_branch .LBB15_32
.LBB15_22:
                                        ; implicit-def: $vgpr2
	s_cbranch_execz .LBB15_32
; %bb.23:
	v_cmp_gt_u32_e32 vcc_lo, 28, v0
	s_and_saveexec_b32 s0, vcc_lo
	s_cbranch_execz .LBB15_25
; %bb.24:
	s_waitcnt lgkmcnt(0)
	ds_load_2addr_b32 v[2:3], v1 offset1:56
	s_waitcnt lgkmcnt(0)
	v_add_f32_e32 v2, v3, v2
	ds_store_b32 v1, v2
.LBB15_25:
	s_or_b32 exec_lo, exec_lo, s0
	s_waitcnt lgkmcnt(0)
	s_barrier
	buffer_gl0_inv
	s_and_saveexec_b32 s0, vcc_lo
	s_cbranch_execz .LBB15_27
; %bb.26:
	ds_load_2addr_b32 v[2:3], v1 offset1:28
	s_waitcnt lgkmcnt(0)
	v_add_f32_e32 v2, v3, v2
	ds_store_b32 v1, v2
.LBB15_27:
	s_or_b32 exec_lo, exec_lo, s0
	s_delay_alu instid0(SALU_CYCLE_1)
	s_mov_b32 s0, exec_lo
	s_waitcnt lgkmcnt(0)
	buffer_gl0_inv
	v_cmpx_lt_u32_e32 13, v0
	s_xor_b32 s0, exec_lo, s0
	s_cbranch_execz .LBB15_29
; %bb.28:
	buffer_gl0_inv
                                        ; implicit-def: $vgpr1
.LBB15_29:
	s_and_not1_saveexec_b32 s0, s0
	s_cbranch_execz .LBB15_31
; %bb.30:
	ds_load_2addr_b32 v[2:3], v1 offset1:14
	s_waitcnt lgkmcnt(0)
	v_add_f32_e32 v2, v3, v2
	ds_store_b32 v1, v2
	s_waitcnt lgkmcnt(0)
	buffer_gl0_inv
	ds_load_b32 v6, v1
.LBB15_31:
	s_or_b32 exec_lo, exec_lo, s0
	s_waitcnt lgkmcnt(0)
	v_mov_b32_e32 v2, v6
.LBB15_32:
	s_mov_b32 s0, exec_lo
	v_cmpx_gt_u32_e32 14, v0
	s_cbranch_execz .LBB15_36
; %bb.33:
	v_cmp_eq_f32_e64 s0, s2, 0
	s_waitcnt lgkmcnt(0)
	v_mul_f32_e32 v1, s10, v2
	s_delay_alu instid0(VALU_DEP_2)
	s_and_b32 vcc_lo, exec_lo, s0
	s_mov_b32 s0, 0
	s_cbranch_vccz .LBB15_37
; %bb.34:
	s_delay_alu instid0(VALU_DEP_1) | instskip(SKIP_1) | instid1(VALU_DEP_1)
	v_mad_u64_u32 v[2:3], null, s8, 14, v[0:1]
	v_mov_b32_e32 v3, 0
	v_lshlrev_b64 v[2:3], 2, v[2:3]
	s_delay_alu instid0(VALU_DEP_1) | instskip(NEXT) | instid1(VALU_DEP_2)
	v_add_co_u32 v2, vcc_lo, s12, v2
	v_add_co_ci_u32_e32 v3, vcc_lo, s13, v3, vcc_lo
	global_store_b32 v[2:3], v1, off
	s_and_not1_b32 vcc_lo, exec_lo, s0
	s_cbranch_vccnz .LBB15_36
.LBB15_35:
	v_mad_u64_u32 v[2:3], null, s8, 14, v[0:1]
	v_mov_b32_e32 v3, 0
	s_delay_alu instid0(VALU_DEP_1) | instskip(NEXT) | instid1(VALU_DEP_1)
	v_lshlrev_b64 v[2:3], 2, v[2:3]
	v_add_co_u32 v2, vcc_lo, s12, v2
	s_delay_alu instid0(VALU_DEP_2)
	v_add_co_ci_u32_e32 v3, vcc_lo, s13, v3, vcc_lo
	global_load_b32 v0, v[2:3], off
	s_waitcnt vmcnt(0)
	v_fmac_f32_e32 v1, s2, v0
	global_store_b32 v[2:3], v1, off
.LBB15_36:
	s_nop 0
	s_sendmsg sendmsg(MSG_DEALLOC_VGPRS)
	s_endpgm
.LBB15_37:
	s_branch .LBB15_35
	.section	.rodata,"a",@progbits
	.p2align	6, 0x0
	.amdhsa_kernel _ZN9rocsparseL22gebsrmvn_mxn_16_kernelILj84ELj14ELj6EfEEvi20rocsparse_direction_NS_24const_host_device_scalarIT2_EEPKiS6_PKS3_iiS8_S4_PS3_21rocsparse_index_base_b
		.amdhsa_group_segment_fixed_size 336
		.amdhsa_private_segment_fixed_size 0
		.amdhsa_kernarg_size 80
		.amdhsa_user_sgpr_count 15
		.amdhsa_user_sgpr_dispatch_ptr 0
		.amdhsa_user_sgpr_queue_ptr 0
		.amdhsa_user_sgpr_kernarg_segment_ptr 1
		.amdhsa_user_sgpr_dispatch_id 0
		.amdhsa_user_sgpr_private_segment_size 0
		.amdhsa_wavefront_size32 1
		.amdhsa_uses_dynamic_stack 0
		.amdhsa_enable_private_segment 0
		.amdhsa_system_sgpr_workgroup_id_x 1
		.amdhsa_system_sgpr_workgroup_id_y 0
		.amdhsa_system_sgpr_workgroup_id_z 0
		.amdhsa_system_sgpr_workgroup_info 0
		.amdhsa_system_vgpr_workitem_id 0
		.amdhsa_next_free_vgpr 11
		.amdhsa_next_free_sgpr 18
		.amdhsa_reserve_vcc 1
		.amdhsa_float_round_mode_32 0
		.amdhsa_float_round_mode_16_64 0
		.amdhsa_float_denorm_mode_32 3
		.amdhsa_float_denorm_mode_16_64 3
		.amdhsa_dx10_clamp 1
		.amdhsa_ieee_mode 1
		.amdhsa_fp16_overflow 0
		.amdhsa_workgroup_processor_mode 1
		.amdhsa_memory_ordered 1
		.amdhsa_forward_progress 0
		.amdhsa_shared_vgpr_count 0
		.amdhsa_exception_fp_ieee_invalid_op 0
		.amdhsa_exception_fp_denorm_src 0
		.amdhsa_exception_fp_ieee_div_zero 0
		.amdhsa_exception_fp_ieee_overflow 0
		.amdhsa_exception_fp_ieee_underflow 0
		.amdhsa_exception_fp_ieee_inexact 0
		.amdhsa_exception_int_div_zero 0
	.end_amdhsa_kernel
	.section	.text._ZN9rocsparseL22gebsrmvn_mxn_16_kernelILj84ELj14ELj6EfEEvi20rocsparse_direction_NS_24const_host_device_scalarIT2_EEPKiS6_PKS3_iiS8_S4_PS3_21rocsparse_index_base_b,"axG",@progbits,_ZN9rocsparseL22gebsrmvn_mxn_16_kernelILj84ELj14ELj6EfEEvi20rocsparse_direction_NS_24const_host_device_scalarIT2_EEPKiS6_PKS3_iiS8_S4_PS3_21rocsparse_index_base_b,comdat
.Lfunc_end15:
	.size	_ZN9rocsparseL22gebsrmvn_mxn_16_kernelILj84ELj14ELj6EfEEvi20rocsparse_direction_NS_24const_host_device_scalarIT2_EEPKiS6_PKS3_iiS8_S4_PS3_21rocsparse_index_base_b, .Lfunc_end15-_ZN9rocsparseL22gebsrmvn_mxn_16_kernelILj84ELj14ELj6EfEEvi20rocsparse_direction_NS_24const_host_device_scalarIT2_EEPKiS6_PKS3_iiS8_S4_PS3_21rocsparse_index_base_b
                                        ; -- End function
	.section	.AMDGPU.csdata,"",@progbits
; Kernel info:
; codeLenInByte = 1244
; NumSgprs: 20
; NumVgprs: 11
; ScratchSize: 0
; MemoryBound: 0
; FloatMode: 240
; IeeeMode: 1
; LDSByteSize: 336 bytes/workgroup (compile time only)
; SGPRBlocks: 2
; VGPRBlocks: 1
; NumSGPRsForWavesPerEU: 20
; NumVGPRsForWavesPerEU: 11
; Occupancy: 16
; WaveLimiterHint : 1
; COMPUTE_PGM_RSRC2:SCRATCH_EN: 0
; COMPUTE_PGM_RSRC2:USER_SGPR: 15
; COMPUTE_PGM_RSRC2:TRAP_HANDLER: 0
; COMPUTE_PGM_RSRC2:TGID_X_EN: 1
; COMPUTE_PGM_RSRC2:TGID_Y_EN: 0
; COMPUTE_PGM_RSRC2:TGID_Z_EN: 0
; COMPUTE_PGM_RSRC2:TIDIG_COMP_CNT: 0
	.section	.text._ZN9rocsparseL22gebsrmvn_mxn_16_kernelILj98ELj14ELj7EfEEvi20rocsparse_direction_NS_24const_host_device_scalarIT2_EEPKiS6_PKS3_iiS8_S4_PS3_21rocsparse_index_base_b,"axG",@progbits,_ZN9rocsparseL22gebsrmvn_mxn_16_kernelILj98ELj14ELj7EfEEvi20rocsparse_direction_NS_24const_host_device_scalarIT2_EEPKiS6_PKS3_iiS8_S4_PS3_21rocsparse_index_base_b,comdat
	.globl	_ZN9rocsparseL22gebsrmvn_mxn_16_kernelILj98ELj14ELj7EfEEvi20rocsparse_direction_NS_24const_host_device_scalarIT2_EEPKiS6_PKS3_iiS8_S4_PS3_21rocsparse_index_base_b ; -- Begin function _ZN9rocsparseL22gebsrmvn_mxn_16_kernelILj98ELj14ELj7EfEEvi20rocsparse_direction_NS_24const_host_device_scalarIT2_EEPKiS6_PKS3_iiS8_S4_PS3_21rocsparse_index_base_b
	.p2align	8
	.type	_ZN9rocsparseL22gebsrmvn_mxn_16_kernelILj98ELj14ELj7EfEEvi20rocsparse_direction_NS_24const_host_device_scalarIT2_EEPKiS6_PKS3_iiS8_S4_PS3_21rocsparse_index_base_b,@function
_ZN9rocsparseL22gebsrmvn_mxn_16_kernelILj98ELj14ELj7EfEEvi20rocsparse_direction_NS_24const_host_device_scalarIT2_EEPKiS6_PKS3_iiS8_S4_PS3_21rocsparse_index_base_b: ; @_ZN9rocsparseL22gebsrmvn_mxn_16_kernelILj98ELj14ELj7EfEEvi20rocsparse_direction_NS_24const_host_device_scalarIT2_EEPKiS6_PKS3_iiS8_S4_PS3_21rocsparse_index_base_b
; %bb.0:
	s_mov_b32 s8, s15
	s_clause 0x2
	s_load_b64 s[14:15], s[0:1], 0x48
	s_load_b64 s[10:11], s[0:1], 0x8
	;; [unrolled: 1-line block ×3, first 2 shown]
	s_waitcnt lgkmcnt(0)
	s_bitcmp1_b32 s15, 0
	s_cselect_b32 s4, -1, 0
	s_delay_alu instid0(SALU_CYCLE_1)
	s_and_b32 vcc_lo, exec_lo, s4
	s_xor_b32 s4, s4, -1
	s_cbranch_vccnz .LBB16_2
; %bb.1:
	s_load_b32 s10, s[10:11], 0x0
.LBB16_2:
	s_and_not1_b32 vcc_lo, exec_lo, s4
	s_cbranch_vccnz .LBB16_4
; %bb.3:
	s_load_b32 s2, s[2:3], 0x0
.LBB16_4:
	s_waitcnt lgkmcnt(0)
	v_cmp_eq_f32_e64 s3, s10, 0
	v_cmp_eq_f32_e64 s4, s2, 1.0
	s_delay_alu instid0(VALU_DEP_1) | instskip(NEXT) | instid1(SALU_CYCLE_1)
	s_and_b32 s3, s3, s4
	s_and_b32 vcc_lo, exec_lo, s3
	s_cbranch_vccnz .LBB16_36
; %bb.5:
	v_mul_u32_u24_e32 v1, 0x2493, v0
	s_clause 0x1
	s_load_b32 s3, s[0:1], 0x4
	s_load_b64 s[4:5], s[0:1], 0x10
	s_delay_alu instid0(VALU_DEP_1) | instskip(NEXT) | instid1(VALU_DEP_1)
	v_lshrrev_b32_e32 v1, 16, v1
	v_mul_lo_u16 v1, v1, 7
	s_delay_alu instid0(VALU_DEP_1) | instskip(NEXT) | instid1(VALU_DEP_1)
	v_sub_nc_u16 v1, v0, v1
	v_and_b32_e32 v7, 0xffff, v1
	s_waitcnt lgkmcnt(0)
	s_cmp_lg_u32 s3, 1
	v_and_b32_e32 v2, 0xffff, v0
	s_cselect_b32 s3, -1, 0
	v_mov_b32_e32 v1, v7
	s_and_b32 vcc_lo, exec_lo, s3
	s_cbranch_vccnz .LBB16_7
; %bb.6:
	v_mul_u32_u24_e32 v1, 0x124a, v2
	s_delay_alu instid0(VALU_DEP_1) | instskip(NEXT) | instid1(VALU_DEP_1)
	v_lshrrev_b32_e32 v1, 16, v1
	v_mul_lo_u16 v3, v1, 37
	s_delay_alu instid0(VALU_DEP_1) | instskip(NEXT) | instid1(VALU_DEP_1)
	v_lshrrev_b16 v3, 8, v3
	v_mul_lo_u16 v3, v3, 7
	s_delay_alu instid0(VALU_DEP_1) | instskip(NEXT) | instid1(VALU_DEP_1)
	v_sub_nc_u16 v1, v1, v3
	v_and_b32_e32 v1, 0xff, v1
.LBB16_7:
	s_ashr_i32 s9, s8, 31
	v_mov_b32_e32 v6, 0
	s_lshl_b64 s[6:7], s[8:9], 2
	s_delay_alu instid0(SALU_CYCLE_1)
	s_add_u32 s4, s4, s6
	s_addc_u32 s5, s5, s7
	s_load_b64 s[16:17], s[4:5], 0x0
	s_load_b64 s[12:13], s[0:1], 0x40
	s_waitcnt lgkmcnt(0)
	s_cmp_ge_i32 s16, s17
	s_cbranch_scc1 .LBB16_12
; %bb.8:
	s_clause 0x1
	s_load_b128 s[4:7], s[0:1], 0x18
	s_load_b64 s[0:1], s[0:1], 0x30
	v_mad_u64_u32 v[4:5], null, 0x62, s16, v[0:1]
	v_mul_u32_u24_e32 v2, 0x29d, v2
	v_mov_b32_e32 v3, 0
	s_mul_i32 s9, s14, 0x62
	s_sub_i32 s11, s16, s14
	s_delay_alu instid0(VALU_DEP_2) | instskip(NEXT) | instid1(VALU_DEP_4)
	v_lshrrev_b32_e32 v8, 16, v2
	v_subrev_nc_u32_e32 v2, s9, v4
	v_mov_b32_e32 v6, v3
	s_sub_i32 s9, s17, s14
	s_set_inst_prefetch_distance 0x1
	s_branch .LBB16_10
	.p2align	6
.LBB16_9:                               ;   in Loop: Header=BB16_10 Depth=1
	s_or_b32 exec_lo, exec_lo, s15
	v_add_nc_u32_e32 v2, 0x62, v2
	s_add_i32 s11, s11, 1
	s_delay_alu instid0(SALU_CYCLE_1)
	s_cmp_ge_i32 s11, s9
	s_cbranch_scc1 .LBB16_12
.LBB16_10:                              ; =>This Inner Loop Header: Depth=1
	v_add_nc_u32_e32 v4, s11, v8
	s_mov_b32 s15, exec_lo
	s_delay_alu instid0(VALU_DEP_1)
	v_cmpx_gt_i32_e64 s9, v4
	s_cbranch_execz .LBB16_9
; %bb.11:                               ;   in Loop: Header=BB16_10 Depth=1
	v_ashrrev_i32_e32 v5, 31, v4
	s_delay_alu instid0(VALU_DEP_1) | instskip(SKIP_1) | instid1(VALU_DEP_1)
	v_lshlrev_b64 v[4:5], 2, v[4:5]
	s_waitcnt lgkmcnt(0)
	v_add_co_u32 v4, vcc_lo, s4, v4
	s_delay_alu instid0(VALU_DEP_2) | instskip(SKIP_3) | instid1(VALU_DEP_1)
	v_add_co_ci_u32_e32 v5, vcc_lo, s5, v5, vcc_lo
	global_load_b32 v4, v[4:5], off
	s_waitcnt vmcnt(0)
	v_subrev_nc_u32_e32 v9, s14, v4
	v_mad_u64_u32 v[4:5], null, v9, 7, v[1:2]
	v_lshlrev_b64 v[9:10], 2, v[2:3]
	s_delay_alu instid0(VALU_DEP_1) | instskip(NEXT) | instid1(VALU_DEP_3)
	v_add_co_u32 v9, vcc_lo, s6, v9
	v_ashrrev_i32_e32 v5, 31, v4
	s_delay_alu instid0(VALU_DEP_3) | instskip(NEXT) | instid1(VALU_DEP_2)
	v_add_co_ci_u32_e32 v10, vcc_lo, s7, v10, vcc_lo
	v_lshlrev_b64 v[4:5], 2, v[4:5]
	s_delay_alu instid0(VALU_DEP_1) | instskip(NEXT) | instid1(VALU_DEP_2)
	v_add_co_u32 v4, vcc_lo, s0, v4
	v_add_co_ci_u32_e32 v5, vcc_lo, s1, v5, vcc_lo
	global_load_b32 v9, v[9:10], off
	global_load_b32 v4, v[4:5], off
	s_waitcnt vmcnt(0)
	v_fmac_f32_e32 v6, v9, v4
	s_branch .LBB16_9
.LBB16_12:
	s_set_inst_prefetch_distance 0x2
	v_lshlrev_b32_e32 v1, 2, v0
	s_and_b32 vcc_lo, exec_lo, s3
	ds_store_b32 v1, v6
	s_waitcnt lgkmcnt(0)
	s_barrier
	buffer_gl0_inv
	s_cbranch_vccz .LBB16_22
; %bb.13:
	s_mov_b32 s0, exec_lo
	v_cmpx_gt_u16_e32 3, v7
	s_cbranch_execz .LBB16_15
; %bb.14:
	ds_load_2addr_b32 v[2:3], v1 offset1:4
	s_waitcnt lgkmcnt(0)
	v_add_f32_e32 v2, v3, v2
	ds_store_b32 v1, v2
.LBB16_15:
	s_or_b32 exec_lo, exec_lo, s0
	s_delay_alu instid0(SALU_CYCLE_1)
	s_mov_b32 s0, exec_lo
	s_waitcnt lgkmcnt(0)
	s_barrier
	buffer_gl0_inv
	v_cmpx_gt_u16_e32 2, v7
	s_cbranch_execz .LBB16_17
; %bb.16:
	ds_load_2addr_b32 v[2:3], v1 offset1:2
	s_waitcnt lgkmcnt(0)
	v_add_f32_e32 v2, v3, v2
	ds_store_b32 v1, v2
.LBB16_17:
	s_or_b32 exec_lo, exec_lo, s0
	s_delay_alu instid0(SALU_CYCLE_1)
	s_mov_b32 s0, exec_lo
	s_waitcnt lgkmcnt(0)
	s_barrier
	buffer_gl0_inv
	v_cmpx_eq_u16_e32 0, v7
	s_cbranch_execz .LBB16_19
; %bb.18:
	ds_load_2addr_b32 v[2:3], v1 offset1:1
	s_waitcnt lgkmcnt(0)
	v_add_f32_e32 v2, v3, v2
	ds_store_b32 v1, v2
.LBB16_19:
	s_or_b32 exec_lo, exec_lo, s0
	v_mov_b32_e32 v2, v6
	s_mov_b32 s0, exec_lo
	s_waitcnt lgkmcnt(0)
	s_barrier
	buffer_gl0_inv
	v_cmpx_gt_u32_e32 14, v0
	s_cbranch_execz .LBB16_21
; %bb.20:
	v_mad_u32_u24 v2, v0, 24, v1
	ds_load_b32 v2, v2
.LBB16_21:
	s_or_b32 exec_lo, exec_lo, s0
	s_branch .LBB16_32
.LBB16_22:
                                        ; implicit-def: $vgpr2
	s_cbranch_execz .LBB16_32
; %bb.23:
	s_mov_b32 s0, exec_lo
	v_cmpx_gt_u32_e32 42, v0
	s_cbranch_execz .LBB16_25
; %bb.24:
	s_waitcnt lgkmcnt(0)
	ds_load_2addr_b32 v[2:3], v1 offset1:56
	s_waitcnt lgkmcnt(0)
	v_add_f32_e32 v2, v3, v2
	ds_store_b32 v1, v2
.LBB16_25:
	s_or_b32 exec_lo, exec_lo, s0
	s_delay_alu instid0(SALU_CYCLE_1)
	s_mov_b32 s0, exec_lo
	s_waitcnt lgkmcnt(0)
	s_barrier
	buffer_gl0_inv
	v_cmpx_gt_u32_e32 28, v0
	s_cbranch_execz .LBB16_27
; %bb.26:
	ds_load_2addr_b32 v[2:3], v1 offset1:28
	s_waitcnt lgkmcnt(0)
	v_add_f32_e32 v2, v3, v2
	ds_store_b32 v1, v2
.LBB16_27:
	s_or_b32 exec_lo, exec_lo, s0
	s_delay_alu instid0(SALU_CYCLE_1)
	s_mov_b32 s0, exec_lo
	s_waitcnt lgkmcnt(0)
	buffer_gl0_inv
	v_cmpx_lt_u32_e32 13, v0
	s_xor_b32 s0, exec_lo, s0
	s_cbranch_execz .LBB16_29
; %bb.28:
	buffer_gl0_inv
                                        ; implicit-def: $vgpr1
.LBB16_29:
	s_and_not1_saveexec_b32 s0, s0
	s_cbranch_execz .LBB16_31
; %bb.30:
	ds_load_2addr_b32 v[2:3], v1 offset1:14
	s_waitcnt lgkmcnt(0)
	v_add_f32_e32 v2, v3, v2
	ds_store_b32 v1, v2
	s_waitcnt lgkmcnt(0)
	buffer_gl0_inv
	ds_load_b32 v6, v1
.LBB16_31:
	s_or_b32 exec_lo, exec_lo, s0
	s_waitcnt lgkmcnt(0)
	v_mov_b32_e32 v2, v6
.LBB16_32:
	s_mov_b32 s0, exec_lo
	v_cmpx_gt_u32_e32 14, v0
	s_cbranch_execz .LBB16_36
; %bb.33:
	v_cmp_eq_f32_e64 s0, s2, 0
	s_waitcnt lgkmcnt(0)
	v_mul_f32_e32 v1, s10, v2
	s_delay_alu instid0(VALU_DEP_2)
	s_and_b32 vcc_lo, exec_lo, s0
	s_mov_b32 s0, 0
	s_cbranch_vccz .LBB16_37
; %bb.34:
	s_delay_alu instid0(VALU_DEP_1) | instskip(SKIP_1) | instid1(VALU_DEP_1)
	v_mad_u64_u32 v[2:3], null, s8, 14, v[0:1]
	v_mov_b32_e32 v3, 0
	v_lshlrev_b64 v[2:3], 2, v[2:3]
	s_delay_alu instid0(VALU_DEP_1) | instskip(NEXT) | instid1(VALU_DEP_2)
	v_add_co_u32 v2, vcc_lo, s12, v2
	v_add_co_ci_u32_e32 v3, vcc_lo, s13, v3, vcc_lo
	global_store_b32 v[2:3], v1, off
	s_and_not1_b32 vcc_lo, exec_lo, s0
	s_cbranch_vccnz .LBB16_36
.LBB16_35:
	v_mad_u64_u32 v[2:3], null, s8, 14, v[0:1]
	v_mov_b32_e32 v3, 0
	s_delay_alu instid0(VALU_DEP_1) | instskip(NEXT) | instid1(VALU_DEP_1)
	v_lshlrev_b64 v[2:3], 2, v[2:3]
	v_add_co_u32 v2, vcc_lo, s12, v2
	s_delay_alu instid0(VALU_DEP_2)
	v_add_co_ci_u32_e32 v3, vcc_lo, s13, v3, vcc_lo
	global_load_b32 v0, v[2:3], off
	s_waitcnt vmcnt(0)
	v_fmac_f32_e32 v1, s2, v0
	global_store_b32 v[2:3], v1, off
.LBB16_36:
	s_nop 0
	s_sendmsg sendmsg(MSG_DEALLOC_VGPRS)
	s_endpgm
.LBB16_37:
	s_branch .LBB16_35
	.section	.rodata,"a",@progbits
	.p2align	6, 0x0
	.amdhsa_kernel _ZN9rocsparseL22gebsrmvn_mxn_16_kernelILj98ELj14ELj7EfEEvi20rocsparse_direction_NS_24const_host_device_scalarIT2_EEPKiS6_PKS3_iiS8_S4_PS3_21rocsparse_index_base_b
		.amdhsa_group_segment_fixed_size 392
		.amdhsa_private_segment_fixed_size 0
		.amdhsa_kernarg_size 80
		.amdhsa_user_sgpr_count 15
		.amdhsa_user_sgpr_dispatch_ptr 0
		.amdhsa_user_sgpr_queue_ptr 0
		.amdhsa_user_sgpr_kernarg_segment_ptr 1
		.amdhsa_user_sgpr_dispatch_id 0
		.amdhsa_user_sgpr_private_segment_size 0
		.amdhsa_wavefront_size32 1
		.amdhsa_uses_dynamic_stack 0
		.amdhsa_enable_private_segment 0
		.amdhsa_system_sgpr_workgroup_id_x 1
		.amdhsa_system_sgpr_workgroup_id_y 0
		.amdhsa_system_sgpr_workgroup_id_z 0
		.amdhsa_system_sgpr_workgroup_info 0
		.amdhsa_system_vgpr_workitem_id 0
		.amdhsa_next_free_vgpr 11
		.amdhsa_next_free_sgpr 18
		.amdhsa_reserve_vcc 1
		.amdhsa_float_round_mode_32 0
		.amdhsa_float_round_mode_16_64 0
		.amdhsa_float_denorm_mode_32 3
		.amdhsa_float_denorm_mode_16_64 3
		.amdhsa_dx10_clamp 1
		.amdhsa_ieee_mode 1
		.amdhsa_fp16_overflow 0
		.amdhsa_workgroup_processor_mode 1
		.amdhsa_memory_ordered 1
		.amdhsa_forward_progress 0
		.amdhsa_shared_vgpr_count 0
		.amdhsa_exception_fp_ieee_invalid_op 0
		.amdhsa_exception_fp_denorm_src 0
		.amdhsa_exception_fp_ieee_div_zero 0
		.amdhsa_exception_fp_ieee_overflow 0
		.amdhsa_exception_fp_ieee_underflow 0
		.amdhsa_exception_fp_ieee_inexact 0
		.amdhsa_exception_int_div_zero 0
	.end_amdhsa_kernel
	.section	.text._ZN9rocsparseL22gebsrmvn_mxn_16_kernelILj98ELj14ELj7EfEEvi20rocsparse_direction_NS_24const_host_device_scalarIT2_EEPKiS6_PKS3_iiS8_S4_PS3_21rocsparse_index_base_b,"axG",@progbits,_ZN9rocsparseL22gebsrmvn_mxn_16_kernelILj98ELj14ELj7EfEEvi20rocsparse_direction_NS_24const_host_device_scalarIT2_EEPKiS6_PKS3_iiS8_S4_PS3_21rocsparse_index_base_b,comdat
.Lfunc_end16:
	.size	_ZN9rocsparseL22gebsrmvn_mxn_16_kernelILj98ELj14ELj7EfEEvi20rocsparse_direction_NS_24const_host_device_scalarIT2_EEPKiS6_PKS3_iiS8_S4_PS3_21rocsparse_index_base_b, .Lfunc_end16-_ZN9rocsparseL22gebsrmvn_mxn_16_kernelILj98ELj14ELj7EfEEvi20rocsparse_direction_NS_24const_host_device_scalarIT2_EEPKiS6_PKS3_iiS8_S4_PS3_21rocsparse_index_base_b
                                        ; -- End function
	.section	.AMDGPU.csdata,"",@progbits
; Kernel info:
; codeLenInByte = 1260
; NumSgprs: 20
; NumVgprs: 11
; ScratchSize: 0
; MemoryBound: 0
; FloatMode: 240
; IeeeMode: 1
; LDSByteSize: 392 bytes/workgroup (compile time only)
; SGPRBlocks: 2
; VGPRBlocks: 1
; NumSGPRsForWavesPerEU: 20
; NumVGPRsForWavesPerEU: 11
; Occupancy: 16
; WaveLimiterHint : 1
; COMPUTE_PGM_RSRC2:SCRATCH_EN: 0
; COMPUTE_PGM_RSRC2:USER_SGPR: 15
; COMPUTE_PGM_RSRC2:TRAP_HANDLER: 0
; COMPUTE_PGM_RSRC2:TGID_X_EN: 1
; COMPUTE_PGM_RSRC2:TGID_Y_EN: 0
; COMPUTE_PGM_RSRC2:TGID_Z_EN: 0
; COMPUTE_PGM_RSRC2:TIDIG_COMP_CNT: 0
	.section	.text._ZN9rocsparseL22gebsrmvn_mxn_16_kernelILj112ELj14ELj8EfEEvi20rocsparse_direction_NS_24const_host_device_scalarIT2_EEPKiS6_PKS3_iiS8_S4_PS3_21rocsparse_index_base_b,"axG",@progbits,_ZN9rocsparseL22gebsrmvn_mxn_16_kernelILj112ELj14ELj8EfEEvi20rocsparse_direction_NS_24const_host_device_scalarIT2_EEPKiS6_PKS3_iiS8_S4_PS3_21rocsparse_index_base_b,comdat
	.globl	_ZN9rocsparseL22gebsrmvn_mxn_16_kernelILj112ELj14ELj8EfEEvi20rocsparse_direction_NS_24const_host_device_scalarIT2_EEPKiS6_PKS3_iiS8_S4_PS3_21rocsparse_index_base_b ; -- Begin function _ZN9rocsparseL22gebsrmvn_mxn_16_kernelILj112ELj14ELj8EfEEvi20rocsparse_direction_NS_24const_host_device_scalarIT2_EEPKiS6_PKS3_iiS8_S4_PS3_21rocsparse_index_base_b
	.p2align	8
	.type	_ZN9rocsparseL22gebsrmvn_mxn_16_kernelILj112ELj14ELj8EfEEvi20rocsparse_direction_NS_24const_host_device_scalarIT2_EEPKiS6_PKS3_iiS8_S4_PS3_21rocsparse_index_base_b,@function
_ZN9rocsparseL22gebsrmvn_mxn_16_kernelILj112ELj14ELj8EfEEvi20rocsparse_direction_NS_24const_host_device_scalarIT2_EEPKiS6_PKS3_iiS8_S4_PS3_21rocsparse_index_base_b: ; @_ZN9rocsparseL22gebsrmvn_mxn_16_kernelILj112ELj14ELj8EfEEvi20rocsparse_direction_NS_24const_host_device_scalarIT2_EEPKiS6_PKS3_iiS8_S4_PS3_21rocsparse_index_base_b
; %bb.0:
	s_mov_b32 s8, s15
	s_clause 0x2
	s_load_b64 s[14:15], s[0:1], 0x48
	s_load_b64 s[10:11], s[0:1], 0x8
	;; [unrolled: 1-line block ×3, first 2 shown]
	s_waitcnt lgkmcnt(0)
	s_bitcmp1_b32 s15, 0
	s_cselect_b32 s4, -1, 0
	s_delay_alu instid0(SALU_CYCLE_1)
	s_and_b32 vcc_lo, exec_lo, s4
	s_xor_b32 s4, s4, -1
	s_cbranch_vccnz .LBB17_2
; %bb.1:
	s_load_b32 s10, s[10:11], 0x0
.LBB17_2:
	s_and_not1_b32 vcc_lo, exec_lo, s4
	s_cbranch_vccnz .LBB17_4
; %bb.3:
	s_load_b32 s2, s[2:3], 0x0
.LBB17_4:
	s_waitcnt lgkmcnt(0)
	v_cmp_eq_f32_e64 s3, s10, 0
	v_cmp_eq_f32_e64 s4, s2, 1.0
	s_delay_alu instid0(VALU_DEP_1) | instskip(NEXT) | instid1(SALU_CYCLE_1)
	s_and_b32 s3, s3, s4
	s_and_b32 vcc_lo, exec_lo, s3
	s_cbranch_vccnz .LBB17_36
; %bb.5:
	s_clause 0x1
	s_load_b32 s3, s[0:1], 0x4
	s_load_b64 s[4:5], s[0:1], 0x10
	v_and_b32_e32 v6, 7, v0
	s_delay_alu instid0(VALU_DEP_1) | instskip(SKIP_3) | instid1(SALU_CYCLE_1)
	v_mov_b32_e32 v7, v6
	s_waitcnt lgkmcnt(0)
	s_cmp_lg_u32 s3, 1
	s_cselect_b32 s3, -1, 0
	s_and_b32 vcc_lo, exec_lo, s3
	s_cbranch_vccnz .LBB17_7
; %bb.6:
	v_mul_u32_u24_e32 v1, 0x124a, v0
	s_delay_alu instid0(VALU_DEP_1)
	v_bfe_u32 v7, v1, 16, 3
.LBB17_7:
	s_ashr_i32 s9, s8, 31
	v_mov_b32_e32 v5, 0
	s_lshl_b64 s[6:7], s[8:9], 2
	s_delay_alu instid0(SALU_CYCLE_1)
	s_add_u32 s4, s4, s6
	s_addc_u32 s5, s5, s7
	s_load_b64 s[16:17], s[4:5], 0x0
	s_load_b64 s[12:13], s[0:1], 0x40
	s_waitcnt lgkmcnt(0)
	s_cmp_ge_i32 s16, s17
	s_cbranch_scc1 .LBB17_12
; %bb.8:
	s_clause 0x1
	s_load_b128 s[4:7], s[0:1], 0x18
	s_load_b64 s[0:1], s[0:1], 0x30
	v_mad_u64_u32 v[1:2], null, 0x70, s16, v[0:1]
	v_mul_u32_u24_e32 v3, 0x24a, v0
	v_mov_b32_e32 v2, 0
	s_mul_i32 s9, s14, 0x70
	s_sub_i32 s11, s16, s14
	s_delay_alu instid0(VALU_DEP_2) | instskip(NEXT) | instid1(VALU_DEP_4)
	v_lshrrev_b32_e32 v8, 16, v3
	v_subrev_nc_u32_e32 v1, s9, v1
	v_mov_b32_e32 v5, v2
	s_sub_i32 s9, s17, s14
	s_set_inst_prefetch_distance 0x1
	s_branch .LBB17_10
	.p2align	6
.LBB17_9:                               ;   in Loop: Header=BB17_10 Depth=1
	s_or_b32 exec_lo, exec_lo, s15
	v_add_nc_u32_e32 v1, 0x70, v1
	s_add_i32 s11, s11, 1
	s_delay_alu instid0(SALU_CYCLE_1)
	s_cmp_ge_i32 s11, s9
	s_cbranch_scc1 .LBB17_12
.LBB17_10:                              ; =>This Inner Loop Header: Depth=1
	v_add_nc_u32_e32 v3, s11, v8
	s_mov_b32 s15, exec_lo
	s_delay_alu instid0(VALU_DEP_1)
	v_cmpx_gt_i32_e64 s9, v3
	s_cbranch_execz .LBB17_9
; %bb.11:                               ;   in Loop: Header=BB17_10 Depth=1
	v_ashrrev_i32_e32 v4, 31, v3
	v_lshlrev_b64 v[9:10], 2, v[1:2]
	s_delay_alu instid0(VALU_DEP_2) | instskip(SKIP_1) | instid1(VALU_DEP_1)
	v_lshlrev_b64 v[3:4], 2, v[3:4]
	s_waitcnt lgkmcnt(0)
	v_add_co_u32 v3, vcc_lo, s4, v3
	s_delay_alu instid0(VALU_DEP_2) | instskip(NEXT) | instid1(VALU_DEP_4)
	v_add_co_ci_u32_e32 v4, vcc_lo, s5, v4, vcc_lo
	v_add_co_u32 v9, vcc_lo, s6, v9
	v_add_co_ci_u32_e32 v10, vcc_lo, s7, v10, vcc_lo
	global_load_b32 v3, v[3:4], off
	s_waitcnt vmcnt(0)
	v_subrev_nc_u32_e32 v3, s14, v3
	s_delay_alu instid0(VALU_DEP_1) | instskip(NEXT) | instid1(VALU_DEP_1)
	v_lshl_or_b32 v3, v3, 3, v7
	v_ashrrev_i32_e32 v4, 31, v3
	s_delay_alu instid0(VALU_DEP_1) | instskip(NEXT) | instid1(VALU_DEP_1)
	v_lshlrev_b64 v[3:4], 2, v[3:4]
	v_add_co_u32 v3, vcc_lo, s0, v3
	s_delay_alu instid0(VALU_DEP_2)
	v_add_co_ci_u32_e32 v4, vcc_lo, s1, v4, vcc_lo
	global_load_b32 v9, v[9:10], off
	global_load_b32 v3, v[3:4], off
	s_waitcnt vmcnt(0)
	v_fmac_f32_e32 v5, v9, v3
	s_branch .LBB17_9
.LBB17_12:
	s_set_inst_prefetch_distance 0x2
	v_lshlrev_b32_e32 v1, 2, v0
	s_and_b32 vcc_lo, exec_lo, s3
	ds_store_b32 v1, v5
	s_waitcnt lgkmcnt(0)
	s_barrier
	buffer_gl0_inv
	s_cbranch_vccz .LBB17_22
; %bb.13:
	s_mov_b32 s0, exec_lo
	v_cmpx_gt_u32_e32 4, v6
	s_cbranch_execz .LBB17_15
; %bb.14:
	ds_load_2addr_b32 v[2:3], v1 offset1:4
	s_waitcnt lgkmcnt(0)
	v_add_f32_e32 v2, v3, v2
	ds_store_b32 v1, v2
.LBB17_15:
	s_or_b32 exec_lo, exec_lo, s0
	s_delay_alu instid0(SALU_CYCLE_1)
	s_mov_b32 s0, exec_lo
	s_waitcnt lgkmcnt(0)
	s_barrier
	buffer_gl0_inv
	v_cmpx_gt_u32_e32 2, v6
	s_cbranch_execz .LBB17_17
; %bb.16:
	ds_load_2addr_b32 v[2:3], v1 offset1:2
	s_waitcnt lgkmcnt(0)
	v_add_f32_e32 v2, v3, v2
	ds_store_b32 v1, v2
.LBB17_17:
	s_or_b32 exec_lo, exec_lo, s0
	s_delay_alu instid0(SALU_CYCLE_1)
	s_mov_b32 s0, exec_lo
	s_waitcnt lgkmcnt(0)
	s_barrier
	buffer_gl0_inv
	v_cmpx_eq_u32_e32 0, v6
	s_cbranch_execz .LBB17_19
; %bb.18:
	ds_load_2addr_b32 v[2:3], v1 offset1:1
	s_waitcnt lgkmcnt(0)
	v_add_f32_e32 v2, v3, v2
	ds_store_b32 v1, v2
.LBB17_19:
	s_or_b32 exec_lo, exec_lo, s0
	v_mov_b32_e32 v2, v5
	s_mov_b32 s0, exec_lo
	s_waitcnt lgkmcnt(0)
	s_barrier
	buffer_gl0_inv
	v_cmpx_gt_u32_e32 14, v0
	s_cbranch_execz .LBB17_21
; %bb.20:
	v_mad_u32_u24 v2, v0, 28, v1
	ds_load_b32 v2, v2
.LBB17_21:
	s_or_b32 exec_lo, exec_lo, s0
	s_branch .LBB17_32
.LBB17_22:
                                        ; implicit-def: $vgpr2
	s_cbranch_execz .LBB17_32
; %bb.23:
	s_mov_b32 s0, exec_lo
	v_cmpx_gt_u32_e32 56, v0
	s_cbranch_execz .LBB17_25
; %bb.24:
	s_waitcnt lgkmcnt(0)
	ds_load_2addr_b32 v[2:3], v1 offset1:56
	s_waitcnt lgkmcnt(0)
	v_add_f32_e32 v2, v3, v2
	ds_store_b32 v1, v2
.LBB17_25:
	s_or_b32 exec_lo, exec_lo, s0
	s_delay_alu instid0(SALU_CYCLE_1)
	s_mov_b32 s0, exec_lo
	s_waitcnt lgkmcnt(0)
	s_barrier
	buffer_gl0_inv
	v_cmpx_gt_u32_e32 28, v0
	s_cbranch_execz .LBB17_27
; %bb.26:
	ds_load_2addr_b32 v[2:3], v1 offset1:28
	s_waitcnt lgkmcnt(0)
	v_add_f32_e32 v2, v3, v2
	ds_store_b32 v1, v2
.LBB17_27:
	s_or_b32 exec_lo, exec_lo, s0
	s_delay_alu instid0(SALU_CYCLE_1)
	s_mov_b32 s0, exec_lo
	s_waitcnt lgkmcnt(0)
	buffer_gl0_inv
	v_cmpx_lt_u32_e32 13, v0
	s_xor_b32 s0, exec_lo, s0
	s_cbranch_execz .LBB17_29
; %bb.28:
	buffer_gl0_inv
                                        ; implicit-def: $vgpr1
.LBB17_29:
	s_and_not1_saveexec_b32 s0, s0
	s_cbranch_execz .LBB17_31
; %bb.30:
	ds_load_2addr_b32 v[2:3], v1 offset1:14
	s_waitcnt lgkmcnt(0)
	v_add_f32_e32 v2, v3, v2
	ds_store_b32 v1, v2
	s_waitcnt lgkmcnt(0)
	buffer_gl0_inv
	ds_load_b32 v5, v1
.LBB17_31:
	s_or_b32 exec_lo, exec_lo, s0
	s_waitcnt lgkmcnt(0)
	v_mov_b32_e32 v2, v5
.LBB17_32:
	s_mov_b32 s0, exec_lo
	v_cmpx_gt_u32_e32 14, v0
	s_cbranch_execz .LBB17_36
; %bb.33:
	v_cmp_eq_f32_e64 s0, s2, 0
	s_waitcnt lgkmcnt(0)
	v_mul_f32_e32 v1, s10, v2
	s_delay_alu instid0(VALU_DEP_2)
	s_and_b32 vcc_lo, exec_lo, s0
	s_mov_b32 s0, 0
	s_cbranch_vccz .LBB17_37
; %bb.34:
	s_delay_alu instid0(VALU_DEP_1) | instskip(SKIP_1) | instid1(VALU_DEP_1)
	v_mad_u64_u32 v[2:3], null, s8, 14, v[0:1]
	v_mov_b32_e32 v3, 0
	v_lshlrev_b64 v[2:3], 2, v[2:3]
	s_delay_alu instid0(VALU_DEP_1) | instskip(NEXT) | instid1(VALU_DEP_2)
	v_add_co_u32 v2, vcc_lo, s12, v2
	v_add_co_ci_u32_e32 v3, vcc_lo, s13, v3, vcc_lo
	global_store_b32 v[2:3], v1, off
	s_and_not1_b32 vcc_lo, exec_lo, s0
	s_cbranch_vccnz .LBB17_36
.LBB17_35:
	v_mad_u64_u32 v[2:3], null, s8, 14, v[0:1]
	v_mov_b32_e32 v3, 0
	s_delay_alu instid0(VALU_DEP_1) | instskip(NEXT) | instid1(VALU_DEP_1)
	v_lshlrev_b64 v[2:3], 2, v[2:3]
	v_add_co_u32 v2, vcc_lo, s12, v2
	s_delay_alu instid0(VALU_DEP_2)
	v_add_co_ci_u32_e32 v3, vcc_lo, s13, v3, vcc_lo
	global_load_b32 v0, v[2:3], off
	s_waitcnt vmcnt(0)
	v_fmac_f32_e32 v1, s2, v0
	global_store_b32 v[2:3], v1, off
.LBB17_36:
	s_nop 0
	s_sendmsg sendmsg(MSG_DEALLOC_VGPRS)
	s_endpgm
.LBB17_37:
	s_branch .LBB17_35
	.section	.rodata,"a",@progbits
	.p2align	6, 0x0
	.amdhsa_kernel _ZN9rocsparseL22gebsrmvn_mxn_16_kernelILj112ELj14ELj8EfEEvi20rocsparse_direction_NS_24const_host_device_scalarIT2_EEPKiS6_PKS3_iiS8_S4_PS3_21rocsparse_index_base_b
		.amdhsa_group_segment_fixed_size 448
		.amdhsa_private_segment_fixed_size 0
		.amdhsa_kernarg_size 80
		.amdhsa_user_sgpr_count 15
		.amdhsa_user_sgpr_dispatch_ptr 0
		.amdhsa_user_sgpr_queue_ptr 0
		.amdhsa_user_sgpr_kernarg_segment_ptr 1
		.amdhsa_user_sgpr_dispatch_id 0
		.amdhsa_user_sgpr_private_segment_size 0
		.amdhsa_wavefront_size32 1
		.amdhsa_uses_dynamic_stack 0
		.amdhsa_enable_private_segment 0
		.amdhsa_system_sgpr_workgroup_id_x 1
		.amdhsa_system_sgpr_workgroup_id_y 0
		.amdhsa_system_sgpr_workgroup_id_z 0
		.amdhsa_system_sgpr_workgroup_info 0
		.amdhsa_system_vgpr_workitem_id 0
		.amdhsa_next_free_vgpr 11
		.amdhsa_next_free_sgpr 18
		.amdhsa_reserve_vcc 1
		.amdhsa_float_round_mode_32 0
		.amdhsa_float_round_mode_16_64 0
		.amdhsa_float_denorm_mode_32 3
		.amdhsa_float_denorm_mode_16_64 3
		.amdhsa_dx10_clamp 1
		.amdhsa_ieee_mode 1
		.amdhsa_fp16_overflow 0
		.amdhsa_workgroup_processor_mode 1
		.amdhsa_memory_ordered 1
		.amdhsa_forward_progress 0
		.amdhsa_shared_vgpr_count 0
		.amdhsa_exception_fp_ieee_invalid_op 0
		.amdhsa_exception_fp_denorm_src 0
		.amdhsa_exception_fp_ieee_div_zero 0
		.amdhsa_exception_fp_ieee_overflow 0
		.amdhsa_exception_fp_ieee_underflow 0
		.amdhsa_exception_fp_ieee_inexact 0
		.amdhsa_exception_int_div_zero 0
	.end_amdhsa_kernel
	.section	.text._ZN9rocsparseL22gebsrmvn_mxn_16_kernelILj112ELj14ELj8EfEEvi20rocsparse_direction_NS_24const_host_device_scalarIT2_EEPKiS6_PKS3_iiS8_S4_PS3_21rocsparse_index_base_b,"axG",@progbits,_ZN9rocsparseL22gebsrmvn_mxn_16_kernelILj112ELj14ELj8EfEEvi20rocsparse_direction_NS_24const_host_device_scalarIT2_EEPKiS6_PKS3_iiS8_S4_PS3_21rocsparse_index_base_b,comdat
.Lfunc_end17:
	.size	_ZN9rocsparseL22gebsrmvn_mxn_16_kernelILj112ELj14ELj8EfEEvi20rocsparse_direction_NS_24const_host_device_scalarIT2_EEPKiS6_PKS3_iiS8_S4_PS3_21rocsparse_index_base_b, .Lfunc_end17-_ZN9rocsparseL22gebsrmvn_mxn_16_kernelILj112ELj14ELj8EfEEvi20rocsparse_direction_NS_24const_host_device_scalarIT2_EEPKiS6_PKS3_iiS8_S4_PS3_21rocsparse_index_base_b
                                        ; -- End function
	.section	.AMDGPU.csdata,"",@progbits
; Kernel info:
; codeLenInByte = 1172
; NumSgprs: 20
; NumVgprs: 11
; ScratchSize: 0
; MemoryBound: 0
; FloatMode: 240
; IeeeMode: 1
; LDSByteSize: 448 bytes/workgroup (compile time only)
; SGPRBlocks: 2
; VGPRBlocks: 1
; NumSGPRsForWavesPerEU: 20
; NumVGPRsForWavesPerEU: 11
; Occupancy: 16
; WaveLimiterHint : 1
; COMPUTE_PGM_RSRC2:SCRATCH_EN: 0
; COMPUTE_PGM_RSRC2:USER_SGPR: 15
; COMPUTE_PGM_RSRC2:TRAP_HANDLER: 0
; COMPUTE_PGM_RSRC2:TGID_X_EN: 1
; COMPUTE_PGM_RSRC2:TGID_Y_EN: 0
; COMPUTE_PGM_RSRC2:TGID_Z_EN: 0
; COMPUTE_PGM_RSRC2:TIDIG_COMP_CNT: 0
	.section	.text._ZN9rocsparseL22gebsrmvn_mxn_16_kernelILj60ELj15ELj1EfEEvi20rocsparse_direction_NS_24const_host_device_scalarIT2_EEPKiS6_PKS3_iiS8_S4_PS3_21rocsparse_index_base_b,"axG",@progbits,_ZN9rocsparseL22gebsrmvn_mxn_16_kernelILj60ELj15ELj1EfEEvi20rocsparse_direction_NS_24const_host_device_scalarIT2_EEPKiS6_PKS3_iiS8_S4_PS3_21rocsparse_index_base_b,comdat
	.globl	_ZN9rocsparseL22gebsrmvn_mxn_16_kernelILj60ELj15ELj1EfEEvi20rocsparse_direction_NS_24const_host_device_scalarIT2_EEPKiS6_PKS3_iiS8_S4_PS3_21rocsparse_index_base_b ; -- Begin function _ZN9rocsparseL22gebsrmvn_mxn_16_kernelILj60ELj15ELj1EfEEvi20rocsparse_direction_NS_24const_host_device_scalarIT2_EEPKiS6_PKS3_iiS8_S4_PS3_21rocsparse_index_base_b
	.p2align	8
	.type	_ZN9rocsparseL22gebsrmvn_mxn_16_kernelILj60ELj15ELj1EfEEvi20rocsparse_direction_NS_24const_host_device_scalarIT2_EEPKiS6_PKS3_iiS8_S4_PS3_21rocsparse_index_base_b,@function
_ZN9rocsparseL22gebsrmvn_mxn_16_kernelILj60ELj15ELj1EfEEvi20rocsparse_direction_NS_24const_host_device_scalarIT2_EEPKiS6_PKS3_iiS8_S4_PS3_21rocsparse_index_base_b: ; @_ZN9rocsparseL22gebsrmvn_mxn_16_kernelILj60ELj15ELj1EfEEvi20rocsparse_direction_NS_24const_host_device_scalarIT2_EEPKiS6_PKS3_iiS8_S4_PS3_21rocsparse_index_base_b
; %bb.0:
	s_mov_b32 s8, s15
	s_clause 0x2
	s_load_b64 s[14:15], s[0:1], 0x48
	s_load_b64 s[10:11], s[0:1], 0x8
	;; [unrolled: 1-line block ×3, first 2 shown]
	s_waitcnt lgkmcnt(0)
	s_bitcmp1_b32 s15, 0
	s_cselect_b32 s4, -1, 0
	s_delay_alu instid0(SALU_CYCLE_1)
	s_and_b32 vcc_lo, exec_lo, s4
	s_xor_b32 s4, s4, -1
	s_cbranch_vccnz .LBB18_2
; %bb.1:
	s_load_b32 s10, s[10:11], 0x0
.LBB18_2:
	s_and_not1_b32 vcc_lo, exec_lo, s4
	s_cbranch_vccnz .LBB18_4
; %bb.3:
	s_load_b32 s2, s[2:3], 0x0
.LBB18_4:
	s_waitcnt lgkmcnt(0)
	v_cmp_eq_f32_e64 s3, s10, 0
	v_cmp_eq_f32_e64 s4, s2, 1.0
	s_delay_alu instid0(VALU_DEP_1) | instskip(NEXT) | instid1(SALU_CYCLE_1)
	s_and_b32 s3, s3, s4
	s_and_b32 vcc_lo, exec_lo, s3
	s_cbranch_vccnz .LBB18_22
; %bb.5:
	s_load_b64 s[4:5], s[0:1], 0x10
	s_ashr_i32 s9, s8, 31
	s_delay_alu instid0(SALU_CYCLE_1)
	s_lshl_b64 s[6:7], s[8:9], 2
	s_waitcnt lgkmcnt(0)
	s_add_u32 s4, s4, s6
	s_addc_u32 s5, s5, s7
	s_load_b64 s[16:17], s[4:5], 0x0
	s_waitcnt lgkmcnt(0)
	s_cmp_lt_i32 s16, s17
	s_cbranch_scc1 .LBB18_7
; %bb.6:
	s_mov_b32 s4, 0
	s_load_b64 s[12:13], s[0:1], 0x40
	v_mov_b32_e32 v5, s4
	s_cbranch_execz .LBB18_8
	s_branch .LBB18_12
.LBB18_7:
                                        ; implicit-def: $sgpr4
	s_load_b64 s[12:13], s[0:1], 0x40
	v_mov_b32_e32 v5, s4
.LBB18_8:
	s_clause 0x1
	s_load_b128 s[4:7], s[0:1], 0x18
	s_load_b64 s[0:1], s[0:1], 0x30
	v_mad_u64_u32 v[1:2], null, s16, 15, v[0:1]
	v_mul_u32_u24_e32 v3, 0x1112, v0
	v_mov_b32_e32 v2, 0
	s_mul_i32 s3, s14, 15
	s_sub_i32 s9, s16, s14
	s_delay_alu instid0(VALU_DEP_2) | instskip(NEXT) | instid1(VALU_DEP_4)
	v_lshrrev_b32_e32 v6, 16, v3
	v_subrev_nc_u32_e32 v1, s3, v1
	v_mov_b32_e32 v5, v2
	s_sub_i32 s3, s17, s14
	s_set_inst_prefetch_distance 0x1
	s_branch .LBB18_10
	.p2align	6
.LBB18_9:                               ;   in Loop: Header=BB18_10 Depth=1
	s_or_b32 exec_lo, exec_lo, s11
	v_add_nc_u32_e32 v1, 60, v1
	s_add_i32 s9, s9, 4
	s_delay_alu instid0(SALU_CYCLE_1)
	s_cmp_ge_i32 s9, s3
	s_cbranch_scc1 .LBB18_12
.LBB18_10:                              ; =>This Inner Loop Header: Depth=1
	v_add_nc_u32_e32 v3, s9, v6
	s_mov_b32 s11, exec_lo
	s_delay_alu instid0(VALU_DEP_1)
	v_cmpx_gt_i32_e64 s3, v3
	s_cbranch_execz .LBB18_9
; %bb.11:                               ;   in Loop: Header=BB18_10 Depth=1
	v_ashrrev_i32_e32 v4, 31, v3
	v_lshlrev_b64 v[7:8], 2, v[1:2]
	s_delay_alu instid0(VALU_DEP_2) | instskip(SKIP_1) | instid1(VALU_DEP_1)
	v_lshlrev_b64 v[3:4], 2, v[3:4]
	s_waitcnt lgkmcnt(0)
	v_add_co_u32 v3, vcc_lo, s4, v3
	s_delay_alu instid0(VALU_DEP_2) | instskip(NEXT) | instid1(VALU_DEP_4)
	v_add_co_ci_u32_e32 v4, vcc_lo, s5, v4, vcc_lo
	v_add_co_u32 v7, vcc_lo, s6, v7
	v_add_co_ci_u32_e32 v8, vcc_lo, s7, v8, vcc_lo
	global_load_b32 v3, v[3:4], off
	s_waitcnt vmcnt(0)
	v_subrev_nc_u32_e32 v3, s14, v3
	s_delay_alu instid0(VALU_DEP_1) | instskip(NEXT) | instid1(VALU_DEP_1)
	v_ashrrev_i32_e32 v4, 31, v3
	v_lshlrev_b64 v[3:4], 2, v[3:4]
	s_delay_alu instid0(VALU_DEP_1) | instskip(NEXT) | instid1(VALU_DEP_2)
	v_add_co_u32 v3, vcc_lo, s0, v3
	v_add_co_ci_u32_e32 v4, vcc_lo, s1, v4, vcc_lo
	global_load_b32 v7, v[7:8], off
	global_load_b32 v3, v[3:4], off
	s_waitcnt vmcnt(0)
	v_fmac_f32_e32 v5, v7, v3
	s_branch .LBB18_9
.LBB18_12:
	s_set_inst_prefetch_distance 0x2
	v_lshlrev_b32_e32 v1, 2, v0
	s_waitcnt lgkmcnt(0)
	s_mov_b32 s0, exec_lo
	ds_store_b32 v1, v5
	s_waitcnt lgkmcnt(0)
	s_barrier
	buffer_gl0_inv
	v_cmpx_gt_u32_e32 30, v0
	s_cbranch_execz .LBB18_14
; %bb.13:
	ds_load_2addr_b32 v[2:3], v1 offset1:30
	s_waitcnt lgkmcnt(0)
	v_add_f32_e32 v2, v3, v2
	ds_store_b32 v1, v2
.LBB18_14:
	s_or_b32 exec_lo, exec_lo, s0
	v_cmp_gt_u32_e32 vcc_lo, 15, v0
	s_waitcnt lgkmcnt(0)
	s_barrier
	buffer_gl0_inv
	s_and_saveexec_b32 s0, vcc_lo
	s_cbranch_execz .LBB18_16
; %bb.15:
	ds_load_2addr_b32 v[2:3], v1 offset1:15
	s_waitcnt lgkmcnt(0)
	v_add_f32_e32 v2, v3, v2
	ds_store_b32 v1, v2
.LBB18_16:
	s_or_b32 exec_lo, exec_lo, s0
	s_waitcnt lgkmcnt(0)
	s_barrier
	buffer_gl0_inv
	s_and_saveexec_b32 s0, vcc_lo
	s_cbranch_execz .LBB18_18
; %bb.17:
	ds_load_b32 v5, v1
.LBB18_18:
	s_or_b32 exec_lo, exec_lo, s0
	s_and_saveexec_b32 s0, vcc_lo
	s_cbranch_execz .LBB18_22
; %bb.19:
	v_cmp_eq_f32_e64 s0, s2, 0
	s_waitcnt lgkmcnt(0)
	v_mul_f32_e32 v1, s10, v5
	s_delay_alu instid0(VALU_DEP_2)
	s_and_b32 vcc_lo, exec_lo, s0
	s_mov_b32 s0, 0
	s_cbranch_vccz .LBB18_23
; %bb.20:
	s_delay_alu instid0(VALU_DEP_1) | instskip(SKIP_1) | instid1(VALU_DEP_1)
	v_mad_u64_u32 v[2:3], null, s8, 15, v[0:1]
	v_mov_b32_e32 v3, 0
	v_lshlrev_b64 v[2:3], 2, v[2:3]
	s_delay_alu instid0(VALU_DEP_1) | instskip(NEXT) | instid1(VALU_DEP_2)
	v_add_co_u32 v2, vcc_lo, s12, v2
	v_add_co_ci_u32_e32 v3, vcc_lo, s13, v3, vcc_lo
	global_store_b32 v[2:3], v1, off
	s_and_not1_b32 vcc_lo, exec_lo, s0
	s_cbranch_vccnz .LBB18_22
.LBB18_21:
	v_mad_u64_u32 v[2:3], null, s8, 15, v[0:1]
	v_mov_b32_e32 v3, 0
	s_delay_alu instid0(VALU_DEP_1) | instskip(NEXT) | instid1(VALU_DEP_1)
	v_lshlrev_b64 v[2:3], 2, v[2:3]
	v_add_co_u32 v2, vcc_lo, s12, v2
	s_delay_alu instid0(VALU_DEP_2)
	v_add_co_ci_u32_e32 v3, vcc_lo, s13, v3, vcc_lo
	global_load_b32 v0, v[2:3], off
	s_waitcnt vmcnt(0)
	v_fmac_f32_e32 v1, s2, v0
	global_store_b32 v[2:3], v1, off
.LBB18_22:
	s_nop 0
	s_sendmsg sendmsg(MSG_DEALLOC_VGPRS)
	s_endpgm
.LBB18_23:
	s_branch .LBB18_21
	.section	.rodata,"a",@progbits
	.p2align	6, 0x0
	.amdhsa_kernel _ZN9rocsparseL22gebsrmvn_mxn_16_kernelILj60ELj15ELj1EfEEvi20rocsparse_direction_NS_24const_host_device_scalarIT2_EEPKiS6_PKS3_iiS8_S4_PS3_21rocsparse_index_base_b
		.amdhsa_group_segment_fixed_size 240
		.amdhsa_private_segment_fixed_size 0
		.amdhsa_kernarg_size 80
		.amdhsa_user_sgpr_count 15
		.amdhsa_user_sgpr_dispatch_ptr 0
		.amdhsa_user_sgpr_queue_ptr 0
		.amdhsa_user_sgpr_kernarg_segment_ptr 1
		.amdhsa_user_sgpr_dispatch_id 0
		.amdhsa_user_sgpr_private_segment_size 0
		.amdhsa_wavefront_size32 1
		.amdhsa_uses_dynamic_stack 0
		.amdhsa_enable_private_segment 0
		.amdhsa_system_sgpr_workgroup_id_x 1
		.amdhsa_system_sgpr_workgroup_id_y 0
		.amdhsa_system_sgpr_workgroup_id_z 0
		.amdhsa_system_sgpr_workgroup_info 0
		.amdhsa_system_vgpr_workitem_id 0
		.amdhsa_next_free_vgpr 9
		.amdhsa_next_free_sgpr 18
		.amdhsa_reserve_vcc 1
		.amdhsa_float_round_mode_32 0
		.amdhsa_float_round_mode_16_64 0
		.amdhsa_float_denorm_mode_32 3
		.amdhsa_float_denorm_mode_16_64 3
		.amdhsa_dx10_clamp 1
		.amdhsa_ieee_mode 1
		.amdhsa_fp16_overflow 0
		.amdhsa_workgroup_processor_mode 1
		.amdhsa_memory_ordered 1
		.amdhsa_forward_progress 0
		.amdhsa_shared_vgpr_count 0
		.amdhsa_exception_fp_ieee_invalid_op 0
		.amdhsa_exception_fp_denorm_src 0
		.amdhsa_exception_fp_ieee_div_zero 0
		.amdhsa_exception_fp_ieee_overflow 0
		.amdhsa_exception_fp_ieee_underflow 0
		.amdhsa_exception_fp_ieee_inexact 0
		.amdhsa_exception_int_div_zero 0
	.end_amdhsa_kernel
	.section	.text._ZN9rocsparseL22gebsrmvn_mxn_16_kernelILj60ELj15ELj1EfEEvi20rocsparse_direction_NS_24const_host_device_scalarIT2_EEPKiS6_PKS3_iiS8_S4_PS3_21rocsparse_index_base_b,"axG",@progbits,_ZN9rocsparseL22gebsrmvn_mxn_16_kernelILj60ELj15ELj1EfEEvi20rocsparse_direction_NS_24const_host_device_scalarIT2_EEPKiS6_PKS3_iiS8_S4_PS3_21rocsparse_index_base_b,comdat
.Lfunc_end18:
	.size	_ZN9rocsparseL22gebsrmvn_mxn_16_kernelILj60ELj15ELj1EfEEvi20rocsparse_direction_NS_24const_host_device_scalarIT2_EEPKiS6_PKS3_iiS8_S4_PS3_21rocsparse_index_base_b, .Lfunc_end18-_ZN9rocsparseL22gebsrmvn_mxn_16_kernelILj60ELj15ELj1EfEEvi20rocsparse_direction_NS_24const_host_device_scalarIT2_EEPKiS6_PKS3_iiS8_S4_PS3_21rocsparse_index_base_b
                                        ; -- End function
	.section	.AMDGPU.csdata,"",@progbits
; Kernel info:
; codeLenInByte = 808
; NumSgprs: 20
; NumVgprs: 9
; ScratchSize: 0
; MemoryBound: 0
; FloatMode: 240
; IeeeMode: 1
; LDSByteSize: 240 bytes/workgroup (compile time only)
; SGPRBlocks: 2
; VGPRBlocks: 1
; NumSGPRsForWavesPerEU: 20
; NumVGPRsForWavesPerEU: 9
; Occupancy: 16
; WaveLimiterHint : 1
; COMPUTE_PGM_RSRC2:SCRATCH_EN: 0
; COMPUTE_PGM_RSRC2:USER_SGPR: 15
; COMPUTE_PGM_RSRC2:TRAP_HANDLER: 0
; COMPUTE_PGM_RSRC2:TGID_X_EN: 1
; COMPUTE_PGM_RSRC2:TGID_Y_EN: 0
; COMPUTE_PGM_RSRC2:TGID_Z_EN: 0
; COMPUTE_PGM_RSRC2:TIDIG_COMP_CNT: 0
	.section	.text._ZN9rocsparseL22gebsrmvn_mxn_16_kernelILj60ELj15ELj2EfEEvi20rocsparse_direction_NS_24const_host_device_scalarIT2_EEPKiS6_PKS3_iiS8_S4_PS3_21rocsparse_index_base_b,"axG",@progbits,_ZN9rocsparseL22gebsrmvn_mxn_16_kernelILj60ELj15ELj2EfEEvi20rocsparse_direction_NS_24const_host_device_scalarIT2_EEPKiS6_PKS3_iiS8_S4_PS3_21rocsparse_index_base_b,comdat
	.globl	_ZN9rocsparseL22gebsrmvn_mxn_16_kernelILj60ELj15ELj2EfEEvi20rocsparse_direction_NS_24const_host_device_scalarIT2_EEPKiS6_PKS3_iiS8_S4_PS3_21rocsparse_index_base_b ; -- Begin function _ZN9rocsparseL22gebsrmvn_mxn_16_kernelILj60ELj15ELj2EfEEvi20rocsparse_direction_NS_24const_host_device_scalarIT2_EEPKiS6_PKS3_iiS8_S4_PS3_21rocsparse_index_base_b
	.p2align	8
	.type	_ZN9rocsparseL22gebsrmvn_mxn_16_kernelILj60ELj15ELj2EfEEvi20rocsparse_direction_NS_24const_host_device_scalarIT2_EEPKiS6_PKS3_iiS8_S4_PS3_21rocsparse_index_base_b,@function
_ZN9rocsparseL22gebsrmvn_mxn_16_kernelILj60ELj15ELj2EfEEvi20rocsparse_direction_NS_24const_host_device_scalarIT2_EEPKiS6_PKS3_iiS8_S4_PS3_21rocsparse_index_base_b: ; @_ZN9rocsparseL22gebsrmvn_mxn_16_kernelILj60ELj15ELj2EfEEvi20rocsparse_direction_NS_24const_host_device_scalarIT2_EEPKiS6_PKS3_iiS8_S4_PS3_21rocsparse_index_base_b
; %bb.0:
	s_mov_b32 s8, s15
	s_clause 0x2
	s_load_b64 s[14:15], s[0:1], 0x48
	s_load_b64 s[10:11], s[0:1], 0x8
	;; [unrolled: 1-line block ×3, first 2 shown]
	s_waitcnt lgkmcnt(0)
	s_bitcmp1_b32 s15, 0
	s_cselect_b32 s4, -1, 0
	s_delay_alu instid0(SALU_CYCLE_1)
	s_and_b32 vcc_lo, exec_lo, s4
	s_xor_b32 s4, s4, -1
	s_cbranch_vccnz .LBB19_2
; %bb.1:
	s_load_b32 s10, s[10:11], 0x0
.LBB19_2:
	s_and_not1_b32 vcc_lo, exec_lo, s4
	s_cbranch_vccnz .LBB19_4
; %bb.3:
	s_load_b32 s2, s[2:3], 0x0
.LBB19_4:
	s_waitcnt lgkmcnt(0)
	v_cmp_eq_f32_e64 s3, s10, 0
	v_cmp_eq_f32_e64 s4, s2, 1.0
	s_delay_alu instid0(VALU_DEP_1) | instskip(NEXT) | instid1(SALU_CYCLE_1)
	s_and_b32 s3, s3, s4
	s_and_b32 vcc_lo, exec_lo, s3
	s_cbranch_vccnz .LBB19_30
; %bb.5:
	s_clause 0x1
	s_load_b32 s3, s[0:1], 0x4
	s_load_b64 s[4:5], s[0:1], 0x10
	v_and_b32_e32 v6, 1, v0
	s_delay_alu instid0(VALU_DEP_1) | instskip(SKIP_3) | instid1(SALU_CYCLE_1)
	v_mov_b32_e32 v7, v6
	s_waitcnt lgkmcnt(0)
	s_cmp_lg_u32 s3, 1
	s_cselect_b32 s3, -1, 0
	s_and_b32 vcc_lo, exec_lo, s3
	s_cbranch_vccnz .LBB19_7
; %bb.6:
	v_mul_u32_u24_e32 v1, 0x1112, v0
	s_delay_alu instid0(VALU_DEP_1)
	v_bfe_u32 v7, v1, 16, 1
.LBB19_7:
	s_ashr_i32 s9, s8, 31
	v_mov_b32_e32 v5, 0
	s_lshl_b64 s[6:7], s[8:9], 2
	s_delay_alu instid0(SALU_CYCLE_1)
	s_add_u32 s4, s4, s6
	s_addc_u32 s5, s5, s7
	s_load_b64 s[16:17], s[4:5], 0x0
	s_load_b64 s[12:13], s[0:1], 0x40
	s_waitcnt lgkmcnt(0)
	s_cmp_ge_i32 s16, s17
	s_cbranch_scc1 .LBB19_12
; %bb.8:
	s_clause 0x1
	s_load_b128 s[4:7], s[0:1], 0x18
	s_load_b64 s[0:1], s[0:1], 0x30
	v_mad_u64_u32 v[1:2], null, s16, 30, v[0:1]
	v_mul_u32_u24_e32 v3, 0x889, v0
	v_mov_b32_e32 v2, 0
	s_mul_i32 s9, s14, 30
	s_sub_i32 s11, s16, s14
	s_delay_alu instid0(VALU_DEP_2) | instskip(NEXT) | instid1(VALU_DEP_4)
	v_lshrrev_b32_e32 v8, 16, v3
	v_subrev_nc_u32_e32 v1, s9, v1
	v_mov_b32_e32 v5, v2
	s_sub_i32 s9, s17, s14
	s_set_inst_prefetch_distance 0x1
	s_branch .LBB19_10
	.p2align	6
.LBB19_9:                               ;   in Loop: Header=BB19_10 Depth=1
	s_or_b32 exec_lo, exec_lo, s15
	v_add_nc_u32_e32 v1, 60, v1
	s_add_i32 s11, s11, 2
	s_delay_alu instid0(SALU_CYCLE_1)
	s_cmp_ge_i32 s11, s9
	s_cbranch_scc1 .LBB19_12
.LBB19_10:                              ; =>This Inner Loop Header: Depth=1
	v_add_nc_u32_e32 v3, s11, v8
	s_mov_b32 s15, exec_lo
	s_delay_alu instid0(VALU_DEP_1)
	v_cmpx_gt_i32_e64 s9, v3
	s_cbranch_execz .LBB19_9
; %bb.11:                               ;   in Loop: Header=BB19_10 Depth=1
	v_ashrrev_i32_e32 v4, 31, v3
	v_lshlrev_b64 v[9:10], 2, v[1:2]
	s_delay_alu instid0(VALU_DEP_2) | instskip(SKIP_1) | instid1(VALU_DEP_1)
	v_lshlrev_b64 v[3:4], 2, v[3:4]
	s_waitcnt lgkmcnt(0)
	v_add_co_u32 v3, vcc_lo, s4, v3
	s_delay_alu instid0(VALU_DEP_2) | instskip(NEXT) | instid1(VALU_DEP_4)
	v_add_co_ci_u32_e32 v4, vcc_lo, s5, v4, vcc_lo
	v_add_co_u32 v9, vcc_lo, s6, v9
	v_add_co_ci_u32_e32 v10, vcc_lo, s7, v10, vcc_lo
	global_load_b32 v3, v[3:4], off
	s_waitcnt vmcnt(0)
	v_subrev_nc_u32_e32 v3, s14, v3
	s_delay_alu instid0(VALU_DEP_1) | instskip(NEXT) | instid1(VALU_DEP_1)
	v_lshl_or_b32 v3, v3, 1, v7
	v_ashrrev_i32_e32 v4, 31, v3
	s_delay_alu instid0(VALU_DEP_1) | instskip(NEXT) | instid1(VALU_DEP_1)
	v_lshlrev_b64 v[3:4], 2, v[3:4]
	v_add_co_u32 v3, vcc_lo, s0, v3
	s_delay_alu instid0(VALU_DEP_2)
	v_add_co_ci_u32_e32 v4, vcc_lo, s1, v4, vcc_lo
	global_load_b32 v9, v[9:10], off
	global_load_b32 v3, v[3:4], off
	s_waitcnt vmcnt(0)
	v_fmac_f32_e32 v5, v9, v3
	s_branch .LBB19_9
.LBB19_12:
	s_set_inst_prefetch_distance 0x2
	v_lshlrev_b32_e32 v1, 2, v0
	s_waitcnt lgkmcnt(0)
	s_mov_b32 s0, exec_lo
	ds_store_b32 v1, v5
	s_waitcnt lgkmcnt(0)
	s_barrier
	buffer_gl0_inv
	v_cmpx_gt_u32_e32 30, v0
	s_cbranch_execz .LBB19_14
; %bb.13:
	ds_load_2addr_b32 v[2:3], v1 offset1:30
	s_waitcnt lgkmcnt(0)
	v_add_f32_e32 v2, v3, v2
	ds_store_b32 v1, v2
.LBB19_14:
	s_or_b32 exec_lo, exec_lo, s0
	s_delay_alu instid0(SALU_CYCLE_1)
	s_and_b32 vcc_lo, exec_lo, s3
	s_waitcnt lgkmcnt(0)
	s_barrier
	buffer_gl0_inv
	s_cbranch_vccz .LBB19_20
; %bb.15:
	s_mov_b32 s0, exec_lo
	v_cmpx_eq_u32_e32 0, v6
	s_cbranch_execz .LBB19_17
; %bb.16:
	ds_load_2addr_b32 v[2:3], v1 offset1:1
	s_waitcnt lgkmcnt(0)
	v_add_f32_e32 v2, v3, v2
	ds_store_b32 v1, v2
.LBB19_17:
	s_or_b32 exec_lo, exec_lo, s0
	v_mov_b32_e32 v2, v5
	s_mov_b32 s0, exec_lo
	s_waitcnt lgkmcnt(0)
	s_barrier
	buffer_gl0_inv
	v_cmpx_gt_u32_e32 15, v0
	s_cbranch_execz .LBB19_19
; %bb.18:
	v_lshl_add_u32 v2, v0, 2, v1
	ds_load_b32 v2, v2
.LBB19_19:
	s_or_b32 exec_lo, exec_lo, s0
	s_branch .LBB19_26
.LBB19_20:
                                        ; implicit-def: $vgpr2
	s_cbranch_execz .LBB19_26
; %bb.21:
	s_mov_b32 s0, exec_lo
	v_cmpx_lt_u32_e32 14, v0
	s_xor_b32 s0, exec_lo, s0
	s_cbranch_execz .LBB19_23
; %bb.22:
	s_waitcnt lgkmcnt(0)
	buffer_gl0_inv
                                        ; implicit-def: $vgpr1
.LBB19_23:
	s_and_not1_saveexec_b32 s0, s0
	s_cbranch_execz .LBB19_25
; %bb.24:
	s_waitcnt lgkmcnt(0)
	ds_load_2addr_b32 v[2:3], v1 offset1:15
	s_waitcnt lgkmcnt(0)
	v_add_f32_e32 v2, v3, v2
	ds_store_b32 v1, v2
	s_waitcnt lgkmcnt(0)
	buffer_gl0_inv
	ds_load_b32 v5, v1
.LBB19_25:
	s_or_b32 exec_lo, exec_lo, s0
	s_waitcnt lgkmcnt(0)
	v_mov_b32_e32 v2, v5
.LBB19_26:
	s_mov_b32 s0, exec_lo
	v_cmpx_gt_u32_e32 15, v0
	s_cbranch_execz .LBB19_30
; %bb.27:
	v_cmp_eq_f32_e64 s0, s2, 0
	s_waitcnt lgkmcnt(0)
	v_mul_f32_e32 v1, s10, v2
	s_delay_alu instid0(VALU_DEP_2)
	s_and_b32 vcc_lo, exec_lo, s0
	s_mov_b32 s0, 0
	s_cbranch_vccz .LBB19_31
; %bb.28:
	s_delay_alu instid0(VALU_DEP_1) | instskip(SKIP_1) | instid1(VALU_DEP_1)
	v_mad_u64_u32 v[2:3], null, s8, 15, v[0:1]
	v_mov_b32_e32 v3, 0
	v_lshlrev_b64 v[2:3], 2, v[2:3]
	s_delay_alu instid0(VALU_DEP_1) | instskip(NEXT) | instid1(VALU_DEP_2)
	v_add_co_u32 v2, vcc_lo, s12, v2
	v_add_co_ci_u32_e32 v3, vcc_lo, s13, v3, vcc_lo
	global_store_b32 v[2:3], v1, off
	s_and_not1_b32 vcc_lo, exec_lo, s0
	s_cbranch_vccnz .LBB19_30
.LBB19_29:
	v_mad_u64_u32 v[2:3], null, s8, 15, v[0:1]
	v_mov_b32_e32 v3, 0
	s_delay_alu instid0(VALU_DEP_1) | instskip(NEXT) | instid1(VALU_DEP_1)
	v_lshlrev_b64 v[2:3], 2, v[2:3]
	v_add_co_u32 v2, vcc_lo, s12, v2
	s_delay_alu instid0(VALU_DEP_2)
	v_add_co_ci_u32_e32 v3, vcc_lo, s13, v3, vcc_lo
	global_load_b32 v0, v[2:3], off
	s_waitcnt vmcnt(0)
	v_fmac_f32_e32 v1, s2, v0
	global_store_b32 v[2:3], v1, off
.LBB19_30:
	s_nop 0
	s_sendmsg sendmsg(MSG_DEALLOC_VGPRS)
	s_endpgm
.LBB19_31:
	s_branch .LBB19_29
	.section	.rodata,"a",@progbits
	.p2align	6, 0x0
	.amdhsa_kernel _ZN9rocsparseL22gebsrmvn_mxn_16_kernelILj60ELj15ELj2EfEEvi20rocsparse_direction_NS_24const_host_device_scalarIT2_EEPKiS6_PKS3_iiS8_S4_PS3_21rocsparse_index_base_b
		.amdhsa_group_segment_fixed_size 240
		.amdhsa_private_segment_fixed_size 0
		.amdhsa_kernarg_size 80
		.amdhsa_user_sgpr_count 15
		.amdhsa_user_sgpr_dispatch_ptr 0
		.amdhsa_user_sgpr_queue_ptr 0
		.amdhsa_user_sgpr_kernarg_segment_ptr 1
		.amdhsa_user_sgpr_dispatch_id 0
		.amdhsa_user_sgpr_private_segment_size 0
		.amdhsa_wavefront_size32 1
		.amdhsa_uses_dynamic_stack 0
		.amdhsa_enable_private_segment 0
		.amdhsa_system_sgpr_workgroup_id_x 1
		.amdhsa_system_sgpr_workgroup_id_y 0
		.amdhsa_system_sgpr_workgroup_id_z 0
		.amdhsa_system_sgpr_workgroup_info 0
		.amdhsa_system_vgpr_workitem_id 0
		.amdhsa_next_free_vgpr 11
		.amdhsa_next_free_sgpr 18
		.amdhsa_reserve_vcc 1
		.amdhsa_float_round_mode_32 0
		.amdhsa_float_round_mode_16_64 0
		.amdhsa_float_denorm_mode_32 3
		.amdhsa_float_denorm_mode_16_64 3
		.amdhsa_dx10_clamp 1
		.amdhsa_ieee_mode 1
		.amdhsa_fp16_overflow 0
		.amdhsa_workgroup_processor_mode 1
		.amdhsa_memory_ordered 1
		.amdhsa_forward_progress 0
		.amdhsa_shared_vgpr_count 0
		.amdhsa_exception_fp_ieee_invalid_op 0
		.amdhsa_exception_fp_denorm_src 0
		.amdhsa_exception_fp_ieee_div_zero 0
		.amdhsa_exception_fp_ieee_overflow 0
		.amdhsa_exception_fp_ieee_underflow 0
		.amdhsa_exception_fp_ieee_inexact 0
		.amdhsa_exception_int_div_zero 0
	.end_amdhsa_kernel
	.section	.text._ZN9rocsparseL22gebsrmvn_mxn_16_kernelILj60ELj15ELj2EfEEvi20rocsparse_direction_NS_24const_host_device_scalarIT2_EEPKiS6_PKS3_iiS8_S4_PS3_21rocsparse_index_base_b,"axG",@progbits,_ZN9rocsparseL22gebsrmvn_mxn_16_kernelILj60ELj15ELj2EfEEvi20rocsparse_direction_NS_24const_host_device_scalarIT2_EEPKiS6_PKS3_iiS8_S4_PS3_21rocsparse_index_base_b,comdat
.Lfunc_end19:
	.size	_ZN9rocsparseL22gebsrmvn_mxn_16_kernelILj60ELj15ELj2EfEEvi20rocsparse_direction_NS_24const_host_device_scalarIT2_EEPKiS6_PKS3_iiS8_S4_PS3_21rocsparse_index_base_b, .Lfunc_end19-_ZN9rocsparseL22gebsrmvn_mxn_16_kernelILj60ELj15ELj2EfEEvi20rocsparse_direction_NS_24const_host_device_scalarIT2_EEPKiS6_PKS3_iiS8_S4_PS3_21rocsparse_index_base_b
                                        ; -- End function
	.section	.AMDGPU.csdata,"",@progbits
; Kernel info:
; codeLenInByte = 992
; NumSgprs: 20
; NumVgprs: 11
; ScratchSize: 0
; MemoryBound: 0
; FloatMode: 240
; IeeeMode: 1
; LDSByteSize: 240 bytes/workgroup (compile time only)
; SGPRBlocks: 2
; VGPRBlocks: 1
; NumSGPRsForWavesPerEU: 20
; NumVGPRsForWavesPerEU: 11
; Occupancy: 16
; WaveLimiterHint : 1
; COMPUTE_PGM_RSRC2:SCRATCH_EN: 0
; COMPUTE_PGM_RSRC2:USER_SGPR: 15
; COMPUTE_PGM_RSRC2:TRAP_HANDLER: 0
; COMPUTE_PGM_RSRC2:TGID_X_EN: 1
; COMPUTE_PGM_RSRC2:TGID_Y_EN: 0
; COMPUTE_PGM_RSRC2:TGID_Z_EN: 0
; COMPUTE_PGM_RSRC2:TIDIG_COMP_CNT: 0
	.section	.text._ZN9rocsparseL22gebsrmvn_mxn_16_kernelILj45ELj15ELj3EfEEvi20rocsparse_direction_NS_24const_host_device_scalarIT2_EEPKiS6_PKS3_iiS8_S4_PS3_21rocsparse_index_base_b,"axG",@progbits,_ZN9rocsparseL22gebsrmvn_mxn_16_kernelILj45ELj15ELj3EfEEvi20rocsparse_direction_NS_24const_host_device_scalarIT2_EEPKiS6_PKS3_iiS8_S4_PS3_21rocsparse_index_base_b,comdat
	.globl	_ZN9rocsparseL22gebsrmvn_mxn_16_kernelILj45ELj15ELj3EfEEvi20rocsparse_direction_NS_24const_host_device_scalarIT2_EEPKiS6_PKS3_iiS8_S4_PS3_21rocsparse_index_base_b ; -- Begin function _ZN9rocsparseL22gebsrmvn_mxn_16_kernelILj45ELj15ELj3EfEEvi20rocsparse_direction_NS_24const_host_device_scalarIT2_EEPKiS6_PKS3_iiS8_S4_PS3_21rocsparse_index_base_b
	.p2align	8
	.type	_ZN9rocsparseL22gebsrmvn_mxn_16_kernelILj45ELj15ELj3EfEEvi20rocsparse_direction_NS_24const_host_device_scalarIT2_EEPKiS6_PKS3_iiS8_S4_PS3_21rocsparse_index_base_b,@function
_ZN9rocsparseL22gebsrmvn_mxn_16_kernelILj45ELj15ELj3EfEEvi20rocsparse_direction_NS_24const_host_device_scalarIT2_EEPKiS6_PKS3_iiS8_S4_PS3_21rocsparse_index_base_b: ; @_ZN9rocsparseL22gebsrmvn_mxn_16_kernelILj45ELj15ELj3EfEEvi20rocsparse_direction_NS_24const_host_device_scalarIT2_EEPKiS6_PKS3_iiS8_S4_PS3_21rocsparse_index_base_b
; %bb.0:
	s_mov_b32 s8, s15
	s_clause 0x2
	s_load_b64 s[14:15], s[0:1], 0x48
	s_load_b64 s[10:11], s[0:1], 0x8
	s_load_b64 s[2:3], s[0:1], 0x38
	s_waitcnt lgkmcnt(0)
	s_bitcmp1_b32 s15, 0
	s_cselect_b32 s4, -1, 0
	s_delay_alu instid0(SALU_CYCLE_1)
	s_and_b32 vcc_lo, exec_lo, s4
	s_xor_b32 s4, s4, -1
	s_cbranch_vccnz .LBB20_2
; %bb.1:
	s_load_b32 s10, s[10:11], 0x0
.LBB20_2:
	s_and_not1_b32 vcc_lo, exec_lo, s4
	s_cbranch_vccnz .LBB20_4
; %bb.3:
	s_load_b32 s2, s[2:3], 0x0
.LBB20_4:
	s_waitcnt lgkmcnt(0)
	v_cmp_eq_f32_e64 s3, s10, 0
	v_cmp_eq_f32_e64 s4, s2, 1.0
	s_delay_alu instid0(VALU_DEP_1) | instskip(NEXT) | instid1(SALU_CYCLE_1)
	s_and_b32 s3, s3, s4
	s_and_b32 vcc_lo, exec_lo, s3
	s_cbranch_vccnz .LBB20_32
; %bb.5:
	v_mul_u32_u24_e32 v1, 0x5556, v0
	s_clause 0x1
	s_load_b32 s3, s[0:1], 0x4
	s_load_b64 s[4:5], s[0:1], 0x10
	s_delay_alu instid0(VALU_DEP_1) | instskip(NEXT) | instid1(VALU_DEP_1)
	v_lshrrev_b32_e32 v1, 16, v1
	v_mul_lo_u16 v1, v1, 3
	s_delay_alu instid0(VALU_DEP_1) | instskip(NEXT) | instid1(VALU_DEP_1)
	v_sub_nc_u16 v1, v0, v1
	v_and_b32_e32 v7, 0xffff, v1
	s_waitcnt lgkmcnt(0)
	s_cmp_lg_u32 s3, 1
	v_and_b32_e32 v2, 0xffff, v0
	s_cselect_b32 s3, -1, 0
	v_mov_b32_e32 v1, v7
	s_and_b32 vcc_lo, exec_lo, s3
	s_cbranch_vccnz .LBB20_7
; %bb.6:
	v_mul_u32_u24_e32 v1, 0x1112, v2
	s_delay_alu instid0(VALU_DEP_1) | instskip(NEXT) | instid1(VALU_DEP_1)
	v_lshrrev_b32_e32 v1, 16, v1
	v_mul_lo_u16 v3, 0x56, v1
	s_delay_alu instid0(VALU_DEP_1) | instskip(NEXT) | instid1(VALU_DEP_1)
	v_lshrrev_b16 v3, 8, v3
	v_mul_lo_u16 v3, v3, 3
	s_delay_alu instid0(VALU_DEP_1) | instskip(NEXT) | instid1(VALU_DEP_1)
	v_sub_nc_u16 v1, v1, v3
	v_and_b32_e32 v1, 0xff, v1
.LBB20_7:
	s_ashr_i32 s9, s8, 31
	v_mov_b32_e32 v6, 0
	s_lshl_b64 s[6:7], s[8:9], 2
	s_delay_alu instid0(SALU_CYCLE_1)
	s_add_u32 s4, s4, s6
	s_addc_u32 s5, s5, s7
	s_load_b64 s[16:17], s[4:5], 0x0
	s_load_b64 s[12:13], s[0:1], 0x40
	s_waitcnt lgkmcnt(0)
	s_cmp_ge_i32 s16, s17
	s_cbranch_scc1 .LBB20_12
; %bb.8:
	s_clause 0x1
	s_load_b128 s[4:7], s[0:1], 0x18
	s_load_b64 s[0:1], s[0:1], 0x30
	v_mad_u64_u32 v[4:5], null, s16, 45, v[0:1]
	v_mul_u32_u24_e32 v2, 0x5b1, v2
	v_mov_b32_e32 v3, 0
	s_mul_i32 s9, s14, 45
	s_sub_i32 s11, s16, s14
	s_delay_alu instid0(VALU_DEP_2) | instskip(NEXT) | instid1(VALU_DEP_4)
	v_lshrrev_b32_e32 v8, 16, v2
	v_subrev_nc_u32_e32 v2, s9, v4
	v_mov_b32_e32 v6, v3
	s_sub_i32 s9, s17, s14
	s_set_inst_prefetch_distance 0x1
	s_branch .LBB20_10
	.p2align	6
.LBB20_9:                               ;   in Loop: Header=BB20_10 Depth=1
	s_or_b32 exec_lo, exec_lo, s15
	v_add_nc_u32_e32 v2, 45, v2
	s_add_i32 s11, s11, 1
	s_delay_alu instid0(SALU_CYCLE_1)
	s_cmp_ge_i32 s11, s9
	s_cbranch_scc1 .LBB20_12
.LBB20_10:                              ; =>This Inner Loop Header: Depth=1
	v_add_nc_u32_e32 v4, s11, v8
	s_mov_b32 s15, exec_lo
	s_delay_alu instid0(VALU_DEP_1)
	v_cmpx_gt_i32_e64 s9, v4
	s_cbranch_execz .LBB20_9
; %bb.11:                               ;   in Loop: Header=BB20_10 Depth=1
	v_ashrrev_i32_e32 v5, 31, v4
	s_delay_alu instid0(VALU_DEP_1) | instskip(SKIP_1) | instid1(VALU_DEP_1)
	v_lshlrev_b64 v[4:5], 2, v[4:5]
	s_waitcnt lgkmcnt(0)
	v_add_co_u32 v4, vcc_lo, s4, v4
	s_delay_alu instid0(VALU_DEP_2) | instskip(SKIP_3) | instid1(VALU_DEP_1)
	v_add_co_ci_u32_e32 v5, vcc_lo, s5, v5, vcc_lo
	global_load_b32 v4, v[4:5], off
	s_waitcnt vmcnt(0)
	v_subrev_nc_u32_e32 v9, s14, v4
	v_mad_u64_u32 v[4:5], null, v9, 3, v[1:2]
	v_lshlrev_b64 v[9:10], 2, v[2:3]
	s_delay_alu instid0(VALU_DEP_1) | instskip(NEXT) | instid1(VALU_DEP_3)
	v_add_co_u32 v9, vcc_lo, s6, v9
	v_ashrrev_i32_e32 v5, 31, v4
	s_delay_alu instid0(VALU_DEP_3) | instskip(NEXT) | instid1(VALU_DEP_2)
	v_add_co_ci_u32_e32 v10, vcc_lo, s7, v10, vcc_lo
	v_lshlrev_b64 v[4:5], 2, v[4:5]
	s_delay_alu instid0(VALU_DEP_1) | instskip(NEXT) | instid1(VALU_DEP_2)
	v_add_co_u32 v4, vcc_lo, s0, v4
	v_add_co_ci_u32_e32 v5, vcc_lo, s1, v5, vcc_lo
	global_load_b32 v9, v[9:10], off
	global_load_b32 v4, v[4:5], off
	s_waitcnt vmcnt(0)
	v_fmac_f32_e32 v6, v9, v4
	s_branch .LBB20_9
.LBB20_12:
	s_set_inst_prefetch_distance 0x2
	v_lshlrev_b32_e32 v1, 2, v0
	s_and_b32 vcc_lo, exec_lo, s3
	ds_store_b32 v1, v6
	s_waitcnt lgkmcnt(0)
	s_barrier
	buffer_gl0_inv
	s_cbranch_vccz .LBB20_20
; %bb.13:
	v_cmp_eq_u16_e32 vcc_lo, 0, v7
	s_and_saveexec_b32 s0, vcc_lo
	s_cbranch_execz .LBB20_15
; %bb.14:
	ds_load_2addr_b32 v[2:3], v1 offset1:2
	s_waitcnt lgkmcnt(0)
	v_add_f32_e32 v2, v3, v2
	ds_store_b32 v1, v2
.LBB20_15:
	s_or_b32 exec_lo, exec_lo, s0
	s_waitcnt lgkmcnt(0)
	s_barrier
	buffer_gl0_inv
	s_and_saveexec_b32 s0, vcc_lo
	s_cbranch_execz .LBB20_17
; %bb.16:
	ds_load_2addr_b32 v[2:3], v1 offset1:1
	s_waitcnt lgkmcnt(0)
	v_add_f32_e32 v2, v3, v2
	ds_store_b32 v1, v2
.LBB20_17:
	s_or_b32 exec_lo, exec_lo, s0
	v_mov_b32_e32 v2, v6
	s_mov_b32 s0, exec_lo
	s_waitcnt lgkmcnt(0)
	s_barrier
	buffer_gl0_inv
	v_cmpx_gt_u32_e32 15, v0
	s_cbranch_execz .LBB20_19
; %bb.18:
	v_lshl_add_u32 v2, v0, 3, v1
	ds_load_b32 v2, v2
.LBB20_19:
	s_or_b32 exec_lo, exec_lo, s0
	v_cmp_gt_u32_e64 s0, 15, v0
	s_branch .LBB20_28
.LBB20_20:
                                        ; implicit-def: $vgpr2
	v_cmp_gt_u32_e64 s0, 15, v0
	s_cbranch_execz .LBB20_28
; %bb.21:
	v_cmp_lt_u32_e32 vcc_lo, 14, v0
	s_delay_alu instid0(VALU_DEP_2)
	s_and_saveexec_b32 s1, s0
	s_cbranch_execz .LBB20_23
; %bb.22:
	s_waitcnt lgkmcnt(0)
	ds_load_2addr_b32 v[2:3], v1 offset1:30
	s_waitcnt lgkmcnt(0)
	v_add_f32_e32 v2, v3, v2
	ds_store_b32 v1, v2
.LBB20_23:
	s_or_b32 exec_lo, exec_lo, s1
	s_waitcnt lgkmcnt(0)
	s_barrier
	buffer_gl0_inv
	s_and_saveexec_b32 s0, vcc_lo
	s_delay_alu instid0(SALU_CYCLE_1)
	s_xor_b32 s0, exec_lo, s0
	s_cbranch_execz .LBB20_25
; %bb.24:
	buffer_gl0_inv
                                        ; implicit-def: $vgpr1
.LBB20_25:
	s_and_not1_saveexec_b32 s0, s0
	s_cbranch_execz .LBB20_27
; %bb.26:
	ds_load_2addr_b32 v[2:3], v1 offset1:15
	s_waitcnt lgkmcnt(0)
	v_add_f32_e32 v2, v3, v2
	ds_store_b32 v1, v2
	s_waitcnt lgkmcnt(0)
	buffer_gl0_inv
	ds_load_b32 v6, v1
.LBB20_27:
	s_or_b32 exec_lo, exec_lo, s0
	s_waitcnt lgkmcnt(0)
	v_mov_b32_e32 v2, v6
.LBB20_28:
	s_mov_b32 s0, exec_lo
	v_cmpx_gt_u32_e32 15, v0
	s_cbranch_execz .LBB20_32
; %bb.29:
	v_cmp_eq_f32_e64 s0, s2, 0
	s_waitcnt lgkmcnt(0)
	v_mul_f32_e32 v1, s10, v2
	s_delay_alu instid0(VALU_DEP_2)
	s_and_b32 vcc_lo, exec_lo, s0
	s_mov_b32 s0, 0
	s_cbranch_vccz .LBB20_33
; %bb.30:
	s_delay_alu instid0(VALU_DEP_1) | instskip(SKIP_1) | instid1(VALU_DEP_1)
	v_mad_u64_u32 v[2:3], null, s8, 15, v[0:1]
	v_mov_b32_e32 v3, 0
	v_lshlrev_b64 v[2:3], 2, v[2:3]
	s_delay_alu instid0(VALU_DEP_1) | instskip(NEXT) | instid1(VALU_DEP_2)
	v_add_co_u32 v2, vcc_lo, s12, v2
	v_add_co_ci_u32_e32 v3, vcc_lo, s13, v3, vcc_lo
	global_store_b32 v[2:3], v1, off
	s_and_not1_b32 vcc_lo, exec_lo, s0
	s_cbranch_vccnz .LBB20_32
.LBB20_31:
	v_mad_u64_u32 v[2:3], null, s8, 15, v[0:1]
	v_mov_b32_e32 v3, 0
	s_delay_alu instid0(VALU_DEP_1) | instskip(NEXT) | instid1(VALU_DEP_1)
	v_lshlrev_b64 v[2:3], 2, v[2:3]
	v_add_co_u32 v2, vcc_lo, s12, v2
	s_delay_alu instid0(VALU_DEP_2)
	v_add_co_ci_u32_e32 v3, vcc_lo, s13, v3, vcc_lo
	global_load_b32 v0, v[2:3], off
	s_waitcnt vmcnt(0)
	v_fmac_f32_e32 v1, s2, v0
	global_store_b32 v[2:3], v1, off
.LBB20_32:
	s_nop 0
	s_sendmsg sendmsg(MSG_DEALLOC_VGPRS)
	s_endpgm
.LBB20_33:
	s_branch .LBB20_31
	.section	.rodata,"a",@progbits
	.p2align	6, 0x0
	.amdhsa_kernel _ZN9rocsparseL22gebsrmvn_mxn_16_kernelILj45ELj15ELj3EfEEvi20rocsparse_direction_NS_24const_host_device_scalarIT2_EEPKiS6_PKS3_iiS8_S4_PS3_21rocsparse_index_base_b
		.amdhsa_group_segment_fixed_size 180
		.amdhsa_private_segment_fixed_size 0
		.amdhsa_kernarg_size 80
		.amdhsa_user_sgpr_count 15
		.amdhsa_user_sgpr_dispatch_ptr 0
		.amdhsa_user_sgpr_queue_ptr 0
		.amdhsa_user_sgpr_kernarg_segment_ptr 1
		.amdhsa_user_sgpr_dispatch_id 0
		.amdhsa_user_sgpr_private_segment_size 0
		.amdhsa_wavefront_size32 1
		.amdhsa_uses_dynamic_stack 0
		.amdhsa_enable_private_segment 0
		.amdhsa_system_sgpr_workgroup_id_x 1
		.amdhsa_system_sgpr_workgroup_id_y 0
		.amdhsa_system_sgpr_workgroup_id_z 0
		.amdhsa_system_sgpr_workgroup_info 0
		.amdhsa_system_vgpr_workitem_id 0
		.amdhsa_next_free_vgpr 11
		.amdhsa_next_free_sgpr 18
		.amdhsa_reserve_vcc 1
		.amdhsa_float_round_mode_32 0
		.amdhsa_float_round_mode_16_64 0
		.amdhsa_float_denorm_mode_32 3
		.amdhsa_float_denorm_mode_16_64 3
		.amdhsa_dx10_clamp 1
		.amdhsa_ieee_mode 1
		.amdhsa_fp16_overflow 0
		.amdhsa_workgroup_processor_mode 1
		.amdhsa_memory_ordered 1
		.amdhsa_forward_progress 0
		.amdhsa_shared_vgpr_count 0
		.amdhsa_exception_fp_ieee_invalid_op 0
		.amdhsa_exception_fp_denorm_src 0
		.amdhsa_exception_fp_ieee_div_zero 0
		.amdhsa_exception_fp_ieee_overflow 0
		.amdhsa_exception_fp_ieee_underflow 0
		.amdhsa_exception_fp_ieee_inexact 0
		.amdhsa_exception_int_div_zero 0
	.end_amdhsa_kernel
	.section	.text._ZN9rocsparseL22gebsrmvn_mxn_16_kernelILj45ELj15ELj3EfEEvi20rocsparse_direction_NS_24const_host_device_scalarIT2_EEPKiS6_PKS3_iiS8_S4_PS3_21rocsparse_index_base_b,"axG",@progbits,_ZN9rocsparseL22gebsrmvn_mxn_16_kernelILj45ELj15ELj3EfEEvi20rocsparse_direction_NS_24const_host_device_scalarIT2_EEPKiS6_PKS3_iiS8_S4_PS3_21rocsparse_index_base_b,comdat
.Lfunc_end20:
	.size	_ZN9rocsparseL22gebsrmvn_mxn_16_kernelILj45ELj15ELj3EfEEvi20rocsparse_direction_NS_24const_host_device_scalarIT2_EEPKiS6_PKS3_iiS8_S4_PS3_21rocsparse_index_base_b, .Lfunc_end20-_ZN9rocsparseL22gebsrmvn_mxn_16_kernelILj45ELj15ELj3EfEEvi20rocsparse_direction_NS_24const_host_device_scalarIT2_EEPKiS6_PKS3_iiS8_S4_PS3_21rocsparse_index_base_b
                                        ; -- End function
	.section	.AMDGPU.csdata,"",@progbits
; Kernel info:
; codeLenInByte = 1144
; NumSgprs: 20
; NumVgprs: 11
; ScratchSize: 0
; MemoryBound: 0
; FloatMode: 240
; IeeeMode: 1
; LDSByteSize: 180 bytes/workgroup (compile time only)
; SGPRBlocks: 2
; VGPRBlocks: 1
; NumSGPRsForWavesPerEU: 20
; NumVGPRsForWavesPerEU: 11
; Occupancy: 16
; WaveLimiterHint : 1
; COMPUTE_PGM_RSRC2:SCRATCH_EN: 0
; COMPUTE_PGM_RSRC2:USER_SGPR: 15
; COMPUTE_PGM_RSRC2:TRAP_HANDLER: 0
; COMPUTE_PGM_RSRC2:TGID_X_EN: 1
; COMPUTE_PGM_RSRC2:TGID_Y_EN: 0
; COMPUTE_PGM_RSRC2:TGID_Z_EN: 0
; COMPUTE_PGM_RSRC2:TIDIG_COMP_CNT: 0
	.section	.text._ZN9rocsparseL22gebsrmvn_mxn_16_kernelILj60ELj15ELj4EfEEvi20rocsparse_direction_NS_24const_host_device_scalarIT2_EEPKiS6_PKS3_iiS8_S4_PS3_21rocsparse_index_base_b,"axG",@progbits,_ZN9rocsparseL22gebsrmvn_mxn_16_kernelILj60ELj15ELj4EfEEvi20rocsparse_direction_NS_24const_host_device_scalarIT2_EEPKiS6_PKS3_iiS8_S4_PS3_21rocsparse_index_base_b,comdat
	.globl	_ZN9rocsparseL22gebsrmvn_mxn_16_kernelILj60ELj15ELj4EfEEvi20rocsparse_direction_NS_24const_host_device_scalarIT2_EEPKiS6_PKS3_iiS8_S4_PS3_21rocsparse_index_base_b ; -- Begin function _ZN9rocsparseL22gebsrmvn_mxn_16_kernelILj60ELj15ELj4EfEEvi20rocsparse_direction_NS_24const_host_device_scalarIT2_EEPKiS6_PKS3_iiS8_S4_PS3_21rocsparse_index_base_b
	.p2align	8
	.type	_ZN9rocsparseL22gebsrmvn_mxn_16_kernelILj60ELj15ELj4EfEEvi20rocsparse_direction_NS_24const_host_device_scalarIT2_EEPKiS6_PKS3_iiS8_S4_PS3_21rocsparse_index_base_b,@function
_ZN9rocsparseL22gebsrmvn_mxn_16_kernelILj60ELj15ELj4EfEEvi20rocsparse_direction_NS_24const_host_device_scalarIT2_EEPKiS6_PKS3_iiS8_S4_PS3_21rocsparse_index_base_b: ; @_ZN9rocsparseL22gebsrmvn_mxn_16_kernelILj60ELj15ELj4EfEEvi20rocsparse_direction_NS_24const_host_device_scalarIT2_EEPKiS6_PKS3_iiS8_S4_PS3_21rocsparse_index_base_b
; %bb.0:
	s_mov_b32 s8, s15
	s_clause 0x2
	s_load_b64 s[14:15], s[0:1], 0x48
	s_load_b64 s[10:11], s[0:1], 0x8
	;; [unrolled: 1-line block ×3, first 2 shown]
	s_waitcnt lgkmcnt(0)
	s_bitcmp1_b32 s15, 0
	s_cselect_b32 s4, -1, 0
	s_delay_alu instid0(SALU_CYCLE_1)
	s_and_b32 vcc_lo, exec_lo, s4
	s_xor_b32 s4, s4, -1
	s_cbranch_vccnz .LBB21_2
; %bb.1:
	s_load_b32 s10, s[10:11], 0x0
.LBB21_2:
	s_and_not1_b32 vcc_lo, exec_lo, s4
	s_cbranch_vccnz .LBB21_4
; %bb.3:
	s_load_b32 s2, s[2:3], 0x0
.LBB21_4:
	s_waitcnt lgkmcnt(0)
	v_cmp_eq_f32_e64 s3, s10, 0
	v_cmp_eq_f32_e64 s4, s2, 1.0
	s_delay_alu instid0(VALU_DEP_1) | instskip(NEXT) | instid1(SALU_CYCLE_1)
	s_and_b32 s3, s3, s4
	s_and_b32 vcc_lo, exec_lo, s3
	s_cbranch_vccnz .LBB21_32
; %bb.5:
	s_clause 0x1
	s_load_b32 s3, s[0:1], 0x4
	s_load_b64 s[4:5], s[0:1], 0x10
	v_and_b32_e32 v6, 3, v0
	s_delay_alu instid0(VALU_DEP_1) | instskip(SKIP_3) | instid1(SALU_CYCLE_1)
	v_mov_b32_e32 v7, v6
	s_waitcnt lgkmcnt(0)
	s_cmp_lg_u32 s3, 1
	s_cselect_b32 s3, -1, 0
	s_and_b32 vcc_lo, exec_lo, s3
	s_cbranch_vccnz .LBB21_7
; %bb.6:
	v_mul_u32_u24_e32 v1, 0x1112, v0
	s_delay_alu instid0(VALU_DEP_1)
	v_bfe_u32 v7, v1, 16, 2
.LBB21_7:
	s_ashr_i32 s9, s8, 31
	v_mov_b32_e32 v5, 0
	s_lshl_b64 s[6:7], s[8:9], 2
	s_delay_alu instid0(SALU_CYCLE_1)
	s_add_u32 s4, s4, s6
	s_addc_u32 s5, s5, s7
	s_load_b64 s[16:17], s[4:5], 0x0
	s_load_b64 s[12:13], s[0:1], 0x40
	s_waitcnt lgkmcnt(0)
	s_cmp_ge_i32 s16, s17
	s_cbranch_scc1 .LBB21_12
; %bb.8:
	s_clause 0x1
	s_load_b128 s[4:7], s[0:1], 0x18
	s_load_b64 s[0:1], s[0:1], 0x30
	v_mad_u64_u32 v[1:2], null, s16, 60, v[0:1]
	v_mul_u32_u24_e32 v3, 0x445, v0
	v_mov_b32_e32 v2, 0
	s_mul_i32 s9, s14, 60
	s_sub_i32 s11, s16, s14
	s_delay_alu instid0(VALU_DEP_2) | instskip(NEXT) | instid1(VALU_DEP_4)
	v_lshrrev_b32_e32 v8, 16, v3
	v_subrev_nc_u32_e32 v1, s9, v1
	v_mov_b32_e32 v5, v2
	s_sub_i32 s9, s17, s14
	s_set_inst_prefetch_distance 0x1
	s_branch .LBB21_10
	.p2align	6
.LBB21_9:                               ;   in Loop: Header=BB21_10 Depth=1
	s_or_b32 exec_lo, exec_lo, s15
	v_add_nc_u32_e32 v1, 60, v1
	s_add_i32 s11, s11, 1
	s_delay_alu instid0(SALU_CYCLE_1)
	s_cmp_ge_i32 s11, s9
	s_cbranch_scc1 .LBB21_12
.LBB21_10:                              ; =>This Inner Loop Header: Depth=1
	v_add_nc_u32_e32 v3, s11, v8
	s_mov_b32 s15, exec_lo
	s_delay_alu instid0(VALU_DEP_1)
	v_cmpx_gt_i32_e64 s9, v3
	s_cbranch_execz .LBB21_9
; %bb.11:                               ;   in Loop: Header=BB21_10 Depth=1
	v_ashrrev_i32_e32 v4, 31, v3
	v_lshlrev_b64 v[9:10], 2, v[1:2]
	s_delay_alu instid0(VALU_DEP_2) | instskip(SKIP_1) | instid1(VALU_DEP_1)
	v_lshlrev_b64 v[3:4], 2, v[3:4]
	s_waitcnt lgkmcnt(0)
	v_add_co_u32 v3, vcc_lo, s4, v3
	s_delay_alu instid0(VALU_DEP_2) | instskip(NEXT) | instid1(VALU_DEP_4)
	v_add_co_ci_u32_e32 v4, vcc_lo, s5, v4, vcc_lo
	v_add_co_u32 v9, vcc_lo, s6, v9
	v_add_co_ci_u32_e32 v10, vcc_lo, s7, v10, vcc_lo
	global_load_b32 v3, v[3:4], off
	s_waitcnt vmcnt(0)
	v_subrev_nc_u32_e32 v3, s14, v3
	s_delay_alu instid0(VALU_DEP_1) | instskip(NEXT) | instid1(VALU_DEP_1)
	v_lshl_or_b32 v3, v3, 2, v7
	v_ashrrev_i32_e32 v4, 31, v3
	s_delay_alu instid0(VALU_DEP_1) | instskip(NEXT) | instid1(VALU_DEP_1)
	v_lshlrev_b64 v[3:4], 2, v[3:4]
	v_add_co_u32 v3, vcc_lo, s0, v3
	s_delay_alu instid0(VALU_DEP_2)
	v_add_co_ci_u32_e32 v4, vcc_lo, s1, v4, vcc_lo
	global_load_b32 v9, v[9:10], off
	global_load_b32 v3, v[3:4], off
	s_waitcnt vmcnt(0)
	v_fmac_f32_e32 v5, v9, v3
	s_branch .LBB21_9
.LBB21_12:
	s_set_inst_prefetch_distance 0x2
	v_lshlrev_b32_e32 v1, 2, v0
	s_and_b32 vcc_lo, exec_lo, s3
	ds_store_b32 v1, v5
	s_waitcnt lgkmcnt(0)
	s_barrier
	buffer_gl0_inv
	s_cbranch_vccz .LBB21_20
; %bb.13:
	s_mov_b32 s0, exec_lo
	v_cmpx_gt_u32_e32 2, v6
	s_cbranch_execz .LBB21_15
; %bb.14:
	ds_load_2addr_b32 v[2:3], v1 offset1:2
	s_waitcnt lgkmcnt(0)
	v_add_f32_e32 v2, v3, v2
	ds_store_b32 v1, v2
.LBB21_15:
	s_or_b32 exec_lo, exec_lo, s0
	s_delay_alu instid0(SALU_CYCLE_1)
	s_mov_b32 s0, exec_lo
	s_waitcnt lgkmcnt(0)
	s_barrier
	buffer_gl0_inv
	v_cmpx_eq_u32_e32 0, v6
	s_cbranch_execz .LBB21_17
; %bb.16:
	ds_load_2addr_b32 v[2:3], v1 offset1:1
	s_waitcnt lgkmcnt(0)
	v_add_f32_e32 v2, v3, v2
	ds_store_b32 v1, v2
.LBB21_17:
	s_or_b32 exec_lo, exec_lo, s0
	v_mov_b32_e32 v2, v5
	s_mov_b32 s0, exec_lo
	s_waitcnt lgkmcnt(0)
	s_barrier
	buffer_gl0_inv
	v_cmpx_gt_u32_e32 15, v0
	s_cbranch_execz .LBB21_19
; %bb.18:
	v_mad_u32_u24 v2, v0, 12, v1
	ds_load_b32 v2, v2
.LBB21_19:
	s_or_b32 exec_lo, exec_lo, s0
	s_branch .LBB21_28
.LBB21_20:
                                        ; implicit-def: $vgpr2
	s_cbranch_execz .LBB21_28
; %bb.21:
	s_mov_b32 s0, exec_lo
	v_cmpx_gt_u32_e32 30, v0
	s_cbranch_execz .LBB21_23
; %bb.22:
	s_waitcnt lgkmcnt(0)
	ds_load_2addr_b32 v[2:3], v1 offset1:30
	s_waitcnt lgkmcnt(0)
	v_add_f32_e32 v2, v3, v2
	ds_store_b32 v1, v2
.LBB21_23:
	s_or_b32 exec_lo, exec_lo, s0
	s_delay_alu instid0(SALU_CYCLE_1)
	s_mov_b32 s0, exec_lo
	s_waitcnt lgkmcnt(0)
	buffer_gl0_inv
	v_cmpx_lt_u32_e32 14, v0
	s_xor_b32 s0, exec_lo, s0
	s_cbranch_execz .LBB21_25
; %bb.24:
	buffer_gl0_inv
                                        ; implicit-def: $vgpr1
.LBB21_25:
	s_and_not1_saveexec_b32 s0, s0
	s_cbranch_execz .LBB21_27
; %bb.26:
	ds_load_2addr_b32 v[2:3], v1 offset1:15
	s_waitcnt lgkmcnt(0)
	v_add_f32_e32 v2, v3, v2
	ds_store_b32 v1, v2
	s_waitcnt lgkmcnt(0)
	buffer_gl0_inv
	ds_load_b32 v5, v1
.LBB21_27:
	s_or_b32 exec_lo, exec_lo, s0
	s_waitcnt lgkmcnt(0)
	v_mov_b32_e32 v2, v5
.LBB21_28:
	s_mov_b32 s0, exec_lo
	v_cmpx_gt_u32_e32 15, v0
	s_cbranch_execz .LBB21_32
; %bb.29:
	v_cmp_eq_f32_e64 s0, s2, 0
	s_waitcnt lgkmcnt(0)
	v_mul_f32_e32 v1, s10, v2
	s_delay_alu instid0(VALU_DEP_2)
	s_and_b32 vcc_lo, exec_lo, s0
	s_mov_b32 s0, 0
	s_cbranch_vccz .LBB21_33
; %bb.30:
	s_delay_alu instid0(VALU_DEP_1) | instskip(SKIP_1) | instid1(VALU_DEP_1)
	v_mad_u64_u32 v[2:3], null, s8, 15, v[0:1]
	v_mov_b32_e32 v3, 0
	v_lshlrev_b64 v[2:3], 2, v[2:3]
	s_delay_alu instid0(VALU_DEP_1) | instskip(NEXT) | instid1(VALU_DEP_2)
	v_add_co_u32 v2, vcc_lo, s12, v2
	v_add_co_ci_u32_e32 v3, vcc_lo, s13, v3, vcc_lo
	global_store_b32 v[2:3], v1, off
	s_and_not1_b32 vcc_lo, exec_lo, s0
	s_cbranch_vccnz .LBB21_32
.LBB21_31:
	v_mad_u64_u32 v[2:3], null, s8, 15, v[0:1]
	v_mov_b32_e32 v3, 0
	s_delay_alu instid0(VALU_DEP_1) | instskip(NEXT) | instid1(VALU_DEP_1)
	v_lshlrev_b64 v[2:3], 2, v[2:3]
	v_add_co_u32 v2, vcc_lo, s12, v2
	s_delay_alu instid0(VALU_DEP_2)
	v_add_co_ci_u32_e32 v3, vcc_lo, s13, v3, vcc_lo
	global_load_b32 v0, v[2:3], off
	s_waitcnt vmcnt(0)
	v_fmac_f32_e32 v1, s2, v0
	global_store_b32 v[2:3], v1, off
.LBB21_32:
	s_nop 0
	s_sendmsg sendmsg(MSG_DEALLOC_VGPRS)
	s_endpgm
.LBB21_33:
	s_branch .LBB21_31
	.section	.rodata,"a",@progbits
	.p2align	6, 0x0
	.amdhsa_kernel _ZN9rocsparseL22gebsrmvn_mxn_16_kernelILj60ELj15ELj4EfEEvi20rocsparse_direction_NS_24const_host_device_scalarIT2_EEPKiS6_PKS3_iiS8_S4_PS3_21rocsparse_index_base_b
		.amdhsa_group_segment_fixed_size 240
		.amdhsa_private_segment_fixed_size 0
		.amdhsa_kernarg_size 80
		.amdhsa_user_sgpr_count 15
		.amdhsa_user_sgpr_dispatch_ptr 0
		.amdhsa_user_sgpr_queue_ptr 0
		.amdhsa_user_sgpr_kernarg_segment_ptr 1
		.amdhsa_user_sgpr_dispatch_id 0
		.amdhsa_user_sgpr_private_segment_size 0
		.amdhsa_wavefront_size32 1
		.amdhsa_uses_dynamic_stack 0
		.amdhsa_enable_private_segment 0
		.amdhsa_system_sgpr_workgroup_id_x 1
		.amdhsa_system_sgpr_workgroup_id_y 0
		.amdhsa_system_sgpr_workgroup_id_z 0
		.amdhsa_system_sgpr_workgroup_info 0
		.amdhsa_system_vgpr_workitem_id 0
		.amdhsa_next_free_vgpr 11
		.amdhsa_next_free_sgpr 18
		.amdhsa_reserve_vcc 1
		.amdhsa_float_round_mode_32 0
		.amdhsa_float_round_mode_16_64 0
		.amdhsa_float_denorm_mode_32 3
		.amdhsa_float_denorm_mode_16_64 3
		.amdhsa_dx10_clamp 1
		.amdhsa_ieee_mode 1
		.amdhsa_fp16_overflow 0
		.amdhsa_workgroup_processor_mode 1
		.amdhsa_memory_ordered 1
		.amdhsa_forward_progress 0
		.amdhsa_shared_vgpr_count 0
		.amdhsa_exception_fp_ieee_invalid_op 0
		.amdhsa_exception_fp_denorm_src 0
		.amdhsa_exception_fp_ieee_div_zero 0
		.amdhsa_exception_fp_ieee_overflow 0
		.amdhsa_exception_fp_ieee_underflow 0
		.amdhsa_exception_fp_ieee_inexact 0
		.amdhsa_exception_int_div_zero 0
	.end_amdhsa_kernel
	.section	.text._ZN9rocsparseL22gebsrmvn_mxn_16_kernelILj60ELj15ELj4EfEEvi20rocsparse_direction_NS_24const_host_device_scalarIT2_EEPKiS6_PKS3_iiS8_S4_PS3_21rocsparse_index_base_b,"axG",@progbits,_ZN9rocsparseL22gebsrmvn_mxn_16_kernelILj60ELj15ELj4EfEEvi20rocsparse_direction_NS_24const_host_device_scalarIT2_EEPKiS6_PKS3_iiS8_S4_PS3_21rocsparse_index_base_b,comdat
.Lfunc_end21:
	.size	_ZN9rocsparseL22gebsrmvn_mxn_16_kernelILj60ELj15ELj4EfEEvi20rocsparse_direction_NS_24const_host_device_scalarIT2_EEPKiS6_PKS3_iiS8_S4_PS3_21rocsparse_index_base_b, .Lfunc_end21-_ZN9rocsparseL22gebsrmvn_mxn_16_kernelILj60ELj15ELj4EfEEvi20rocsparse_direction_NS_24const_host_device_scalarIT2_EEPKiS6_PKS3_iiS8_S4_PS3_21rocsparse_index_base_b
                                        ; -- End function
	.section	.AMDGPU.csdata,"",@progbits
; Kernel info:
; codeLenInByte = 1040
; NumSgprs: 20
; NumVgprs: 11
; ScratchSize: 0
; MemoryBound: 0
; FloatMode: 240
; IeeeMode: 1
; LDSByteSize: 240 bytes/workgroup (compile time only)
; SGPRBlocks: 2
; VGPRBlocks: 1
; NumSGPRsForWavesPerEU: 20
; NumVGPRsForWavesPerEU: 11
; Occupancy: 16
; WaveLimiterHint : 1
; COMPUTE_PGM_RSRC2:SCRATCH_EN: 0
; COMPUTE_PGM_RSRC2:USER_SGPR: 15
; COMPUTE_PGM_RSRC2:TRAP_HANDLER: 0
; COMPUTE_PGM_RSRC2:TGID_X_EN: 1
; COMPUTE_PGM_RSRC2:TGID_Y_EN: 0
; COMPUTE_PGM_RSRC2:TGID_Z_EN: 0
; COMPUTE_PGM_RSRC2:TIDIG_COMP_CNT: 0
	.section	.text._ZN9rocsparseL22gebsrmvn_mxn_16_kernelILj75ELj15ELj5EfEEvi20rocsparse_direction_NS_24const_host_device_scalarIT2_EEPKiS6_PKS3_iiS8_S4_PS3_21rocsparse_index_base_b,"axG",@progbits,_ZN9rocsparseL22gebsrmvn_mxn_16_kernelILj75ELj15ELj5EfEEvi20rocsparse_direction_NS_24const_host_device_scalarIT2_EEPKiS6_PKS3_iiS8_S4_PS3_21rocsparse_index_base_b,comdat
	.globl	_ZN9rocsparseL22gebsrmvn_mxn_16_kernelILj75ELj15ELj5EfEEvi20rocsparse_direction_NS_24const_host_device_scalarIT2_EEPKiS6_PKS3_iiS8_S4_PS3_21rocsparse_index_base_b ; -- Begin function _ZN9rocsparseL22gebsrmvn_mxn_16_kernelILj75ELj15ELj5EfEEvi20rocsparse_direction_NS_24const_host_device_scalarIT2_EEPKiS6_PKS3_iiS8_S4_PS3_21rocsparse_index_base_b
	.p2align	8
	.type	_ZN9rocsparseL22gebsrmvn_mxn_16_kernelILj75ELj15ELj5EfEEvi20rocsparse_direction_NS_24const_host_device_scalarIT2_EEPKiS6_PKS3_iiS8_S4_PS3_21rocsparse_index_base_b,@function
_ZN9rocsparseL22gebsrmvn_mxn_16_kernelILj75ELj15ELj5EfEEvi20rocsparse_direction_NS_24const_host_device_scalarIT2_EEPKiS6_PKS3_iiS8_S4_PS3_21rocsparse_index_base_b: ; @_ZN9rocsparseL22gebsrmvn_mxn_16_kernelILj75ELj15ELj5EfEEvi20rocsparse_direction_NS_24const_host_device_scalarIT2_EEPKiS6_PKS3_iiS8_S4_PS3_21rocsparse_index_base_b
; %bb.0:
	s_mov_b32 s8, s15
	s_clause 0x2
	s_load_b64 s[14:15], s[0:1], 0x48
	s_load_b64 s[10:11], s[0:1], 0x8
	;; [unrolled: 1-line block ×3, first 2 shown]
	s_waitcnt lgkmcnt(0)
	s_bitcmp1_b32 s15, 0
	s_cselect_b32 s4, -1, 0
	s_delay_alu instid0(SALU_CYCLE_1)
	s_and_b32 vcc_lo, exec_lo, s4
	s_xor_b32 s4, s4, -1
	s_cbranch_vccnz .LBB22_2
; %bb.1:
	s_load_b32 s10, s[10:11], 0x0
.LBB22_2:
	s_and_not1_b32 vcc_lo, exec_lo, s4
	s_cbranch_vccnz .LBB22_4
; %bb.3:
	s_load_b32 s2, s[2:3], 0x0
.LBB22_4:
	s_waitcnt lgkmcnt(0)
	v_cmp_eq_f32_e64 s3, s10, 0
	v_cmp_eq_f32_e64 s4, s2, 1.0
	s_delay_alu instid0(VALU_DEP_1) | instskip(NEXT) | instid1(SALU_CYCLE_1)
	s_and_b32 s3, s3, s4
	s_and_b32 vcc_lo, exec_lo, s3
	s_cbranch_vccnz .LBB22_36
; %bb.5:
	v_mul_u32_u24_e32 v1, 0x3334, v0
	s_clause 0x1
	s_load_b32 s3, s[0:1], 0x4
	s_load_b64 s[4:5], s[0:1], 0x10
	s_delay_alu instid0(VALU_DEP_1) | instskip(NEXT) | instid1(VALU_DEP_1)
	v_lshrrev_b32_e32 v1, 16, v1
	v_mul_lo_u16 v1, v1, 5
	s_delay_alu instid0(VALU_DEP_1) | instskip(NEXT) | instid1(VALU_DEP_1)
	v_sub_nc_u16 v1, v0, v1
	v_and_b32_e32 v7, 0xffff, v1
	s_waitcnt lgkmcnt(0)
	s_cmp_lg_u32 s3, 1
	v_and_b32_e32 v2, 0xffff, v0
	s_cselect_b32 s3, -1, 0
	v_mov_b32_e32 v1, v7
	s_and_b32 vcc_lo, exec_lo, s3
	s_cbranch_vccnz .LBB22_7
; %bb.6:
	v_mul_u32_u24_e32 v1, 0x1112, v2
	s_delay_alu instid0(VALU_DEP_1) | instskip(NEXT) | instid1(VALU_DEP_1)
	v_lshrrev_b32_e32 v1, 16, v1
	v_mul_lo_u16 v3, v1, 52
	s_delay_alu instid0(VALU_DEP_1) | instskip(NEXT) | instid1(VALU_DEP_1)
	v_lshrrev_b16 v3, 8, v3
	v_mul_lo_u16 v3, v3, 5
	s_delay_alu instid0(VALU_DEP_1) | instskip(NEXT) | instid1(VALU_DEP_1)
	v_sub_nc_u16 v1, v1, v3
	v_and_b32_e32 v1, 0xff, v1
.LBB22_7:
	s_ashr_i32 s9, s8, 31
	v_mov_b32_e32 v6, 0
	s_lshl_b64 s[6:7], s[8:9], 2
	s_delay_alu instid0(SALU_CYCLE_1)
	s_add_u32 s4, s4, s6
	s_addc_u32 s5, s5, s7
	s_load_b64 s[16:17], s[4:5], 0x0
	s_load_b64 s[12:13], s[0:1], 0x40
	s_waitcnt lgkmcnt(0)
	s_cmp_ge_i32 s16, s17
	s_cbranch_scc1 .LBB22_12
; %bb.8:
	s_clause 0x1
	s_load_b128 s[4:7], s[0:1], 0x18
	s_load_b64 s[0:1], s[0:1], 0x30
	v_mad_u64_u32 v[4:5], null, 0x4b, s16, v[0:1]
	v_mul_u32_u24_e32 v2, 0x36a, v2
	v_mov_b32_e32 v3, 0
	s_mul_i32 s9, s14, 0x4b
	s_sub_i32 s11, s16, s14
	s_delay_alu instid0(VALU_DEP_2) | instskip(NEXT) | instid1(VALU_DEP_4)
	v_lshrrev_b32_e32 v8, 16, v2
	v_subrev_nc_u32_e32 v2, s9, v4
	v_mov_b32_e32 v6, v3
	s_sub_i32 s9, s17, s14
	s_set_inst_prefetch_distance 0x1
	s_branch .LBB22_10
	.p2align	6
.LBB22_9:                               ;   in Loop: Header=BB22_10 Depth=1
	s_or_b32 exec_lo, exec_lo, s15
	v_add_nc_u32_e32 v2, 0x4b, v2
	s_add_i32 s11, s11, 1
	s_delay_alu instid0(SALU_CYCLE_1)
	s_cmp_ge_i32 s11, s9
	s_cbranch_scc1 .LBB22_12
.LBB22_10:                              ; =>This Inner Loop Header: Depth=1
	v_add_nc_u32_e32 v4, s11, v8
	s_mov_b32 s15, exec_lo
	s_delay_alu instid0(VALU_DEP_1)
	v_cmpx_gt_i32_e64 s9, v4
	s_cbranch_execz .LBB22_9
; %bb.11:                               ;   in Loop: Header=BB22_10 Depth=1
	v_ashrrev_i32_e32 v5, 31, v4
	s_delay_alu instid0(VALU_DEP_1) | instskip(SKIP_1) | instid1(VALU_DEP_1)
	v_lshlrev_b64 v[4:5], 2, v[4:5]
	s_waitcnt lgkmcnt(0)
	v_add_co_u32 v4, vcc_lo, s4, v4
	s_delay_alu instid0(VALU_DEP_2) | instskip(SKIP_3) | instid1(VALU_DEP_1)
	v_add_co_ci_u32_e32 v5, vcc_lo, s5, v5, vcc_lo
	global_load_b32 v4, v[4:5], off
	s_waitcnt vmcnt(0)
	v_subrev_nc_u32_e32 v9, s14, v4
	v_mad_u64_u32 v[4:5], null, v9, 5, v[1:2]
	v_lshlrev_b64 v[9:10], 2, v[2:3]
	s_delay_alu instid0(VALU_DEP_1) | instskip(NEXT) | instid1(VALU_DEP_3)
	v_add_co_u32 v9, vcc_lo, s6, v9
	v_ashrrev_i32_e32 v5, 31, v4
	s_delay_alu instid0(VALU_DEP_3) | instskip(NEXT) | instid1(VALU_DEP_2)
	v_add_co_ci_u32_e32 v10, vcc_lo, s7, v10, vcc_lo
	v_lshlrev_b64 v[4:5], 2, v[4:5]
	s_delay_alu instid0(VALU_DEP_1) | instskip(NEXT) | instid1(VALU_DEP_2)
	v_add_co_u32 v4, vcc_lo, s0, v4
	v_add_co_ci_u32_e32 v5, vcc_lo, s1, v5, vcc_lo
	global_load_b32 v9, v[9:10], off
	global_load_b32 v4, v[4:5], off
	s_waitcnt vmcnt(0)
	v_fmac_f32_e32 v6, v9, v4
	s_branch .LBB22_9
.LBB22_12:
	s_set_inst_prefetch_distance 0x2
	v_lshlrev_b32_e32 v1, 2, v0
	s_and_b32 vcc_lo, exec_lo, s3
	ds_store_b32 v1, v6
	s_waitcnt lgkmcnt(0)
	s_barrier
	buffer_gl0_inv
	s_cbranch_vccz .LBB22_22
; %bb.13:
	v_cmp_eq_u16_e32 vcc_lo, 0, v7
	s_and_saveexec_b32 s0, vcc_lo
	s_cbranch_execz .LBB22_15
; %bb.14:
	ds_load_2addr_b32 v[2:3], v1 offset1:4
	s_waitcnt lgkmcnt(0)
	v_add_f32_e32 v2, v3, v2
	ds_store_b32 v1, v2
.LBB22_15:
	s_or_b32 exec_lo, exec_lo, s0
	s_delay_alu instid0(SALU_CYCLE_1)
	s_mov_b32 s1, exec_lo
	s_waitcnt lgkmcnt(0)
	s_barrier
	buffer_gl0_inv
	v_cmpx_gt_u16_e32 2, v7
	s_cbranch_execz .LBB22_17
; %bb.16:
	ds_load_2addr_b32 v[2:3], v1 offset1:2
	s_waitcnt lgkmcnt(0)
	v_add_f32_e32 v2, v3, v2
	ds_store_b32 v1, v2
.LBB22_17:
	s_or_b32 exec_lo, exec_lo, s1
	s_waitcnt lgkmcnt(0)
	s_barrier
	buffer_gl0_inv
	s_and_saveexec_b32 s0, vcc_lo
	s_cbranch_execz .LBB22_19
; %bb.18:
	ds_load_2addr_b32 v[2:3], v1 offset1:1
	s_waitcnt lgkmcnt(0)
	v_add_f32_e32 v2, v3, v2
	ds_store_b32 v1, v2
.LBB22_19:
	s_or_b32 exec_lo, exec_lo, s0
	v_mov_b32_e32 v2, v6
	s_mov_b32 s0, exec_lo
	s_waitcnt lgkmcnt(0)
	s_barrier
	buffer_gl0_inv
	v_cmpx_gt_u32_e32 15, v0
	s_cbranch_execz .LBB22_21
; %bb.20:
	v_lshl_add_u32 v2, v0, 4, v1
	ds_load_b32 v2, v2
.LBB22_21:
	s_or_b32 exec_lo, exec_lo, s0
	v_cmp_gt_u32_e64 s0, 15, v0
	s_branch .LBB22_32
.LBB22_22:
                                        ; implicit-def: $vgpr2
	v_cmp_gt_u32_e64 s0, 15, v0
	s_cbranch_execz .LBB22_32
; %bb.23:
	v_cmp_lt_u32_e32 vcc_lo, 14, v0
	s_delay_alu instid0(VALU_DEP_2)
	s_and_saveexec_b32 s1, s0
	s_cbranch_execz .LBB22_25
; %bb.24:
	s_waitcnt lgkmcnt(0)
	ds_load_2addr_b32 v[2:3], v1 offset1:60
	s_waitcnt lgkmcnt(0)
	v_add_f32_e32 v2, v3, v2
	ds_store_b32 v1, v2
.LBB22_25:
	s_or_b32 exec_lo, exec_lo, s1
	s_delay_alu instid0(SALU_CYCLE_1)
	s_mov_b32 s1, exec_lo
	s_waitcnt lgkmcnt(0)
	s_barrier
	buffer_gl0_inv
	v_cmpx_gt_u32_e32 30, v0
	s_cbranch_execz .LBB22_27
; %bb.26:
	ds_load_2addr_b32 v[2:3], v1 offset1:30
	s_waitcnt lgkmcnt(0)
	v_add_f32_e32 v2, v3, v2
	ds_store_b32 v1, v2
.LBB22_27:
	s_or_b32 exec_lo, exec_lo, s1
	s_waitcnt lgkmcnt(0)
	buffer_gl0_inv
	s_and_saveexec_b32 s0, vcc_lo
	s_delay_alu instid0(SALU_CYCLE_1)
	s_xor_b32 s0, exec_lo, s0
	s_cbranch_execz .LBB22_29
; %bb.28:
	buffer_gl0_inv
                                        ; implicit-def: $vgpr1
.LBB22_29:
	s_and_not1_saveexec_b32 s0, s0
	s_cbranch_execz .LBB22_31
; %bb.30:
	ds_load_2addr_b32 v[2:3], v1 offset1:15
	s_waitcnt lgkmcnt(0)
	v_add_f32_e32 v2, v3, v2
	ds_store_b32 v1, v2
	s_waitcnt lgkmcnt(0)
	buffer_gl0_inv
	ds_load_b32 v6, v1
.LBB22_31:
	s_or_b32 exec_lo, exec_lo, s0
	s_waitcnt lgkmcnt(0)
	v_mov_b32_e32 v2, v6
.LBB22_32:
	s_mov_b32 s0, exec_lo
	v_cmpx_gt_u32_e32 15, v0
	s_cbranch_execz .LBB22_36
; %bb.33:
	v_cmp_eq_f32_e64 s0, s2, 0
	s_waitcnt lgkmcnt(0)
	v_mul_f32_e32 v1, s10, v2
	s_delay_alu instid0(VALU_DEP_2)
	s_and_b32 vcc_lo, exec_lo, s0
	s_mov_b32 s0, 0
	s_cbranch_vccz .LBB22_37
; %bb.34:
	s_delay_alu instid0(VALU_DEP_1) | instskip(SKIP_1) | instid1(VALU_DEP_1)
	v_mad_u64_u32 v[2:3], null, s8, 15, v[0:1]
	v_mov_b32_e32 v3, 0
	v_lshlrev_b64 v[2:3], 2, v[2:3]
	s_delay_alu instid0(VALU_DEP_1) | instskip(NEXT) | instid1(VALU_DEP_2)
	v_add_co_u32 v2, vcc_lo, s12, v2
	v_add_co_ci_u32_e32 v3, vcc_lo, s13, v3, vcc_lo
	global_store_b32 v[2:3], v1, off
	s_and_not1_b32 vcc_lo, exec_lo, s0
	s_cbranch_vccnz .LBB22_36
.LBB22_35:
	v_mad_u64_u32 v[2:3], null, s8, 15, v[0:1]
	v_mov_b32_e32 v3, 0
	s_delay_alu instid0(VALU_DEP_1) | instskip(NEXT) | instid1(VALU_DEP_1)
	v_lshlrev_b64 v[2:3], 2, v[2:3]
	v_add_co_u32 v2, vcc_lo, s12, v2
	s_delay_alu instid0(VALU_DEP_2)
	v_add_co_ci_u32_e32 v3, vcc_lo, s13, v3, vcc_lo
	global_load_b32 v0, v[2:3], off
	s_waitcnt vmcnt(0)
	v_fmac_f32_e32 v1, s2, v0
	global_store_b32 v[2:3], v1, off
.LBB22_36:
	s_nop 0
	s_sendmsg sendmsg(MSG_DEALLOC_VGPRS)
	s_endpgm
.LBB22_37:
	s_branch .LBB22_35
	.section	.rodata,"a",@progbits
	.p2align	6, 0x0
	.amdhsa_kernel _ZN9rocsparseL22gebsrmvn_mxn_16_kernelILj75ELj15ELj5EfEEvi20rocsparse_direction_NS_24const_host_device_scalarIT2_EEPKiS6_PKS3_iiS8_S4_PS3_21rocsparse_index_base_b
		.amdhsa_group_segment_fixed_size 300
		.amdhsa_private_segment_fixed_size 0
		.amdhsa_kernarg_size 80
		.amdhsa_user_sgpr_count 15
		.amdhsa_user_sgpr_dispatch_ptr 0
		.amdhsa_user_sgpr_queue_ptr 0
		.amdhsa_user_sgpr_kernarg_segment_ptr 1
		.amdhsa_user_sgpr_dispatch_id 0
		.amdhsa_user_sgpr_private_segment_size 0
		.amdhsa_wavefront_size32 1
		.amdhsa_uses_dynamic_stack 0
		.amdhsa_enable_private_segment 0
		.amdhsa_system_sgpr_workgroup_id_x 1
		.amdhsa_system_sgpr_workgroup_id_y 0
		.amdhsa_system_sgpr_workgroup_id_z 0
		.amdhsa_system_sgpr_workgroup_info 0
		.amdhsa_system_vgpr_workitem_id 0
		.amdhsa_next_free_vgpr 11
		.amdhsa_next_free_sgpr 18
		.amdhsa_reserve_vcc 1
		.amdhsa_float_round_mode_32 0
		.amdhsa_float_round_mode_16_64 0
		.amdhsa_float_denorm_mode_32 3
		.amdhsa_float_denorm_mode_16_64 3
		.amdhsa_dx10_clamp 1
		.amdhsa_ieee_mode 1
		.amdhsa_fp16_overflow 0
		.amdhsa_workgroup_processor_mode 1
		.amdhsa_memory_ordered 1
		.amdhsa_forward_progress 0
		.amdhsa_shared_vgpr_count 0
		.amdhsa_exception_fp_ieee_invalid_op 0
		.amdhsa_exception_fp_denorm_src 0
		.amdhsa_exception_fp_ieee_div_zero 0
		.amdhsa_exception_fp_ieee_overflow 0
		.amdhsa_exception_fp_ieee_underflow 0
		.amdhsa_exception_fp_ieee_inexact 0
		.amdhsa_exception_int_div_zero 0
	.end_amdhsa_kernel
	.section	.text._ZN9rocsparseL22gebsrmvn_mxn_16_kernelILj75ELj15ELj5EfEEvi20rocsparse_direction_NS_24const_host_device_scalarIT2_EEPKiS6_PKS3_iiS8_S4_PS3_21rocsparse_index_base_b,"axG",@progbits,_ZN9rocsparseL22gebsrmvn_mxn_16_kernelILj75ELj15ELj5EfEEvi20rocsparse_direction_NS_24const_host_device_scalarIT2_EEPKiS6_PKS3_iiS8_S4_PS3_21rocsparse_index_base_b,comdat
.Lfunc_end22:
	.size	_ZN9rocsparseL22gebsrmvn_mxn_16_kernelILj75ELj15ELj5EfEEvi20rocsparse_direction_NS_24const_host_device_scalarIT2_EEPKiS6_PKS3_iiS8_S4_PS3_21rocsparse_index_base_b, .Lfunc_end22-_ZN9rocsparseL22gebsrmvn_mxn_16_kernelILj75ELj15ELj5EfEEvi20rocsparse_direction_NS_24const_host_device_scalarIT2_EEPKiS6_PKS3_iiS8_S4_PS3_21rocsparse_index_base_b
                                        ; -- End function
	.section	.AMDGPU.csdata,"",@progbits
; Kernel info:
; codeLenInByte = 1268
; NumSgprs: 20
; NumVgprs: 11
; ScratchSize: 0
; MemoryBound: 0
; FloatMode: 240
; IeeeMode: 1
; LDSByteSize: 300 bytes/workgroup (compile time only)
; SGPRBlocks: 2
; VGPRBlocks: 1
; NumSGPRsForWavesPerEU: 20
; NumVGPRsForWavesPerEU: 11
; Occupancy: 16
; WaveLimiterHint : 1
; COMPUTE_PGM_RSRC2:SCRATCH_EN: 0
; COMPUTE_PGM_RSRC2:USER_SGPR: 15
; COMPUTE_PGM_RSRC2:TRAP_HANDLER: 0
; COMPUTE_PGM_RSRC2:TGID_X_EN: 1
; COMPUTE_PGM_RSRC2:TGID_Y_EN: 0
; COMPUTE_PGM_RSRC2:TGID_Z_EN: 0
; COMPUTE_PGM_RSRC2:TIDIG_COMP_CNT: 0
	.section	.text._ZN9rocsparseL22gebsrmvn_mxn_16_kernelILj90ELj15ELj6EfEEvi20rocsparse_direction_NS_24const_host_device_scalarIT2_EEPKiS6_PKS3_iiS8_S4_PS3_21rocsparse_index_base_b,"axG",@progbits,_ZN9rocsparseL22gebsrmvn_mxn_16_kernelILj90ELj15ELj6EfEEvi20rocsparse_direction_NS_24const_host_device_scalarIT2_EEPKiS6_PKS3_iiS8_S4_PS3_21rocsparse_index_base_b,comdat
	.globl	_ZN9rocsparseL22gebsrmvn_mxn_16_kernelILj90ELj15ELj6EfEEvi20rocsparse_direction_NS_24const_host_device_scalarIT2_EEPKiS6_PKS3_iiS8_S4_PS3_21rocsparse_index_base_b ; -- Begin function _ZN9rocsparseL22gebsrmvn_mxn_16_kernelILj90ELj15ELj6EfEEvi20rocsparse_direction_NS_24const_host_device_scalarIT2_EEPKiS6_PKS3_iiS8_S4_PS3_21rocsparse_index_base_b
	.p2align	8
	.type	_ZN9rocsparseL22gebsrmvn_mxn_16_kernelILj90ELj15ELj6EfEEvi20rocsparse_direction_NS_24const_host_device_scalarIT2_EEPKiS6_PKS3_iiS8_S4_PS3_21rocsparse_index_base_b,@function
_ZN9rocsparseL22gebsrmvn_mxn_16_kernelILj90ELj15ELj6EfEEvi20rocsparse_direction_NS_24const_host_device_scalarIT2_EEPKiS6_PKS3_iiS8_S4_PS3_21rocsparse_index_base_b: ; @_ZN9rocsparseL22gebsrmvn_mxn_16_kernelILj90ELj15ELj6EfEEvi20rocsparse_direction_NS_24const_host_device_scalarIT2_EEPKiS6_PKS3_iiS8_S4_PS3_21rocsparse_index_base_b
; %bb.0:
	s_mov_b32 s8, s15
	s_clause 0x2
	s_load_b64 s[14:15], s[0:1], 0x48
	s_load_b64 s[10:11], s[0:1], 0x8
	;; [unrolled: 1-line block ×3, first 2 shown]
	s_waitcnt lgkmcnt(0)
	s_bitcmp1_b32 s15, 0
	s_cselect_b32 s4, -1, 0
	s_delay_alu instid0(SALU_CYCLE_1)
	s_and_b32 vcc_lo, exec_lo, s4
	s_xor_b32 s4, s4, -1
	s_cbranch_vccnz .LBB23_2
; %bb.1:
	s_load_b32 s10, s[10:11], 0x0
.LBB23_2:
	s_and_not1_b32 vcc_lo, exec_lo, s4
	s_cbranch_vccnz .LBB23_4
; %bb.3:
	s_load_b32 s2, s[2:3], 0x0
.LBB23_4:
	s_waitcnt lgkmcnt(0)
	v_cmp_eq_f32_e64 s3, s10, 0
	v_cmp_eq_f32_e64 s4, s2, 1.0
	s_delay_alu instid0(VALU_DEP_1) | instskip(NEXT) | instid1(SALU_CYCLE_1)
	s_and_b32 s3, s3, s4
	s_and_b32 vcc_lo, exec_lo, s3
	s_cbranch_vccnz .LBB23_36
; %bb.5:
	v_mul_u32_u24_e32 v1, 0x2aab, v0
	s_clause 0x1
	s_load_b32 s3, s[0:1], 0x4
	s_load_b64 s[4:5], s[0:1], 0x10
	s_delay_alu instid0(VALU_DEP_1) | instskip(NEXT) | instid1(VALU_DEP_1)
	v_lshrrev_b32_e32 v1, 16, v1
	v_mul_lo_u16 v1, v1, 6
	s_delay_alu instid0(VALU_DEP_1) | instskip(NEXT) | instid1(VALU_DEP_1)
	v_sub_nc_u16 v1, v0, v1
	v_and_b32_e32 v7, 0xffff, v1
	s_waitcnt lgkmcnt(0)
	s_cmp_lg_u32 s3, 1
	v_and_b32_e32 v2, 0xffff, v0
	s_cselect_b32 s3, -1, 0
	v_mov_b32_e32 v1, v7
	s_and_b32 vcc_lo, exec_lo, s3
	s_cbranch_vccnz .LBB23_7
; %bb.6:
	v_mul_u32_u24_e32 v1, 0x1112, v2
	s_delay_alu instid0(VALU_DEP_1) | instskip(NEXT) | instid1(VALU_DEP_1)
	v_lshrrev_b32_e32 v1, 16, v1
	v_mul_lo_u16 v3, v1, 43
	s_delay_alu instid0(VALU_DEP_1) | instskip(NEXT) | instid1(VALU_DEP_1)
	v_lshrrev_b16 v3, 8, v3
	v_mul_lo_u16 v3, v3, 6
	s_delay_alu instid0(VALU_DEP_1) | instskip(NEXT) | instid1(VALU_DEP_1)
	v_sub_nc_u16 v1, v1, v3
	v_and_b32_e32 v1, 0xff, v1
.LBB23_7:
	s_ashr_i32 s9, s8, 31
	v_mov_b32_e32 v6, 0
	s_lshl_b64 s[6:7], s[8:9], 2
	s_delay_alu instid0(SALU_CYCLE_1)
	s_add_u32 s4, s4, s6
	s_addc_u32 s5, s5, s7
	s_load_b64 s[16:17], s[4:5], 0x0
	s_load_b64 s[12:13], s[0:1], 0x40
	s_waitcnt lgkmcnt(0)
	s_cmp_ge_i32 s16, s17
	s_cbranch_scc1 .LBB23_12
; %bb.8:
	s_clause 0x1
	s_load_b128 s[4:7], s[0:1], 0x18
	s_load_b64 s[0:1], s[0:1], 0x30
	v_mad_u64_u32 v[4:5], null, 0x5a, s16, v[0:1]
	v_mul_u32_u24_e32 v2, 0x2d9, v2
	v_mov_b32_e32 v3, 0
	s_mul_i32 s9, s14, 0x5a
	s_sub_i32 s11, s16, s14
	s_delay_alu instid0(VALU_DEP_2) | instskip(NEXT) | instid1(VALU_DEP_4)
	v_lshrrev_b32_e32 v8, 16, v2
	v_subrev_nc_u32_e32 v2, s9, v4
	v_mov_b32_e32 v6, v3
	s_sub_i32 s9, s17, s14
	s_set_inst_prefetch_distance 0x1
	s_branch .LBB23_10
	.p2align	6
.LBB23_9:                               ;   in Loop: Header=BB23_10 Depth=1
	s_or_b32 exec_lo, exec_lo, s15
	v_add_nc_u32_e32 v2, 0x5a, v2
	s_add_i32 s11, s11, 1
	s_delay_alu instid0(SALU_CYCLE_1)
	s_cmp_ge_i32 s11, s9
	s_cbranch_scc1 .LBB23_12
.LBB23_10:                              ; =>This Inner Loop Header: Depth=1
	v_add_nc_u32_e32 v4, s11, v8
	s_mov_b32 s15, exec_lo
	s_delay_alu instid0(VALU_DEP_1)
	v_cmpx_gt_i32_e64 s9, v4
	s_cbranch_execz .LBB23_9
; %bb.11:                               ;   in Loop: Header=BB23_10 Depth=1
	v_ashrrev_i32_e32 v5, 31, v4
	s_delay_alu instid0(VALU_DEP_1) | instskip(SKIP_1) | instid1(VALU_DEP_1)
	v_lshlrev_b64 v[4:5], 2, v[4:5]
	s_waitcnt lgkmcnt(0)
	v_add_co_u32 v4, vcc_lo, s4, v4
	s_delay_alu instid0(VALU_DEP_2) | instskip(SKIP_3) | instid1(VALU_DEP_1)
	v_add_co_ci_u32_e32 v5, vcc_lo, s5, v5, vcc_lo
	global_load_b32 v4, v[4:5], off
	s_waitcnt vmcnt(0)
	v_subrev_nc_u32_e32 v9, s14, v4
	v_mad_u64_u32 v[4:5], null, v9, 6, v[1:2]
	v_lshlrev_b64 v[9:10], 2, v[2:3]
	s_delay_alu instid0(VALU_DEP_1) | instskip(NEXT) | instid1(VALU_DEP_3)
	v_add_co_u32 v9, vcc_lo, s6, v9
	v_ashrrev_i32_e32 v5, 31, v4
	s_delay_alu instid0(VALU_DEP_3) | instskip(NEXT) | instid1(VALU_DEP_2)
	v_add_co_ci_u32_e32 v10, vcc_lo, s7, v10, vcc_lo
	v_lshlrev_b64 v[4:5], 2, v[4:5]
	s_delay_alu instid0(VALU_DEP_1) | instskip(NEXT) | instid1(VALU_DEP_2)
	v_add_co_u32 v4, vcc_lo, s0, v4
	v_add_co_ci_u32_e32 v5, vcc_lo, s1, v5, vcc_lo
	global_load_b32 v9, v[9:10], off
	global_load_b32 v4, v[4:5], off
	s_waitcnt vmcnt(0)
	v_fmac_f32_e32 v6, v9, v4
	s_branch .LBB23_9
.LBB23_12:
	s_set_inst_prefetch_distance 0x2
	v_lshlrev_b32_e32 v1, 2, v0
	s_and_b32 vcc_lo, exec_lo, s3
	ds_store_b32 v1, v6
	s_waitcnt lgkmcnt(0)
	s_barrier
	buffer_gl0_inv
	s_cbranch_vccz .LBB23_22
; %bb.13:
	v_cmp_gt_u16_e32 vcc_lo, 2, v7
	s_and_saveexec_b32 s0, vcc_lo
	s_cbranch_execz .LBB23_15
; %bb.14:
	ds_load_2addr_b32 v[2:3], v1 offset1:4
	s_waitcnt lgkmcnt(0)
	v_add_f32_e32 v2, v3, v2
	ds_store_b32 v1, v2
.LBB23_15:
	s_or_b32 exec_lo, exec_lo, s0
	s_waitcnt lgkmcnt(0)
	s_barrier
	buffer_gl0_inv
	s_and_saveexec_b32 s0, vcc_lo
	s_cbranch_execz .LBB23_17
; %bb.16:
	ds_load_2addr_b32 v[2:3], v1 offset1:2
	s_waitcnt lgkmcnt(0)
	v_add_f32_e32 v2, v3, v2
	ds_store_b32 v1, v2
.LBB23_17:
	s_or_b32 exec_lo, exec_lo, s0
	s_delay_alu instid0(SALU_CYCLE_1)
	s_mov_b32 s0, exec_lo
	s_waitcnt lgkmcnt(0)
	s_barrier
	buffer_gl0_inv
	v_cmpx_eq_u16_e32 0, v7
	s_cbranch_execz .LBB23_19
; %bb.18:
	ds_load_2addr_b32 v[2:3], v1 offset1:1
	s_waitcnt lgkmcnt(0)
	v_add_f32_e32 v2, v3, v2
	ds_store_b32 v1, v2
.LBB23_19:
	s_or_b32 exec_lo, exec_lo, s0
	v_mov_b32_e32 v2, v6
	s_mov_b32 s0, exec_lo
	s_waitcnt lgkmcnt(0)
	s_barrier
	buffer_gl0_inv
	v_cmpx_gt_u32_e32 15, v0
	s_cbranch_execz .LBB23_21
; %bb.20:
	v_mad_u32_u24 v2, v0, 20, v1
	ds_load_b32 v2, v2
.LBB23_21:
	s_or_b32 exec_lo, exec_lo, s0
	s_branch .LBB23_32
.LBB23_22:
                                        ; implicit-def: $vgpr2
	s_cbranch_execz .LBB23_32
; %bb.23:
	v_cmp_gt_u32_e32 vcc_lo, 30, v0
	s_and_saveexec_b32 s0, vcc_lo
	s_cbranch_execz .LBB23_25
; %bb.24:
	s_waitcnt lgkmcnt(0)
	ds_load_2addr_b32 v[2:3], v1 offset1:60
	s_waitcnt lgkmcnt(0)
	v_add_f32_e32 v2, v3, v2
	ds_store_b32 v1, v2
.LBB23_25:
	s_or_b32 exec_lo, exec_lo, s0
	s_waitcnt lgkmcnt(0)
	s_barrier
	buffer_gl0_inv
	s_and_saveexec_b32 s0, vcc_lo
	s_cbranch_execz .LBB23_27
; %bb.26:
	ds_load_2addr_b32 v[2:3], v1 offset1:30
	s_waitcnt lgkmcnt(0)
	v_add_f32_e32 v2, v3, v2
	ds_store_b32 v1, v2
.LBB23_27:
	s_or_b32 exec_lo, exec_lo, s0
	s_delay_alu instid0(SALU_CYCLE_1)
	s_mov_b32 s0, exec_lo
	s_waitcnt lgkmcnt(0)
	buffer_gl0_inv
	v_cmpx_lt_u32_e32 14, v0
	s_xor_b32 s0, exec_lo, s0
	s_cbranch_execz .LBB23_29
; %bb.28:
	buffer_gl0_inv
                                        ; implicit-def: $vgpr1
.LBB23_29:
	s_and_not1_saveexec_b32 s0, s0
	s_cbranch_execz .LBB23_31
; %bb.30:
	ds_load_2addr_b32 v[2:3], v1 offset1:15
	s_waitcnt lgkmcnt(0)
	v_add_f32_e32 v2, v3, v2
	ds_store_b32 v1, v2
	s_waitcnt lgkmcnt(0)
	buffer_gl0_inv
	ds_load_b32 v6, v1
.LBB23_31:
	s_or_b32 exec_lo, exec_lo, s0
	s_waitcnt lgkmcnt(0)
	v_mov_b32_e32 v2, v6
.LBB23_32:
	s_mov_b32 s0, exec_lo
	v_cmpx_gt_u32_e32 15, v0
	s_cbranch_execz .LBB23_36
; %bb.33:
	v_cmp_eq_f32_e64 s0, s2, 0
	s_waitcnt lgkmcnt(0)
	v_mul_f32_e32 v1, s10, v2
	s_delay_alu instid0(VALU_DEP_2)
	s_and_b32 vcc_lo, exec_lo, s0
	s_mov_b32 s0, 0
	s_cbranch_vccz .LBB23_37
; %bb.34:
	s_delay_alu instid0(VALU_DEP_1) | instskip(SKIP_1) | instid1(VALU_DEP_1)
	v_mad_u64_u32 v[2:3], null, s8, 15, v[0:1]
	v_mov_b32_e32 v3, 0
	v_lshlrev_b64 v[2:3], 2, v[2:3]
	s_delay_alu instid0(VALU_DEP_1) | instskip(NEXT) | instid1(VALU_DEP_2)
	v_add_co_u32 v2, vcc_lo, s12, v2
	v_add_co_ci_u32_e32 v3, vcc_lo, s13, v3, vcc_lo
	global_store_b32 v[2:3], v1, off
	s_and_not1_b32 vcc_lo, exec_lo, s0
	s_cbranch_vccnz .LBB23_36
.LBB23_35:
	v_mad_u64_u32 v[2:3], null, s8, 15, v[0:1]
	v_mov_b32_e32 v3, 0
	s_delay_alu instid0(VALU_DEP_1) | instskip(NEXT) | instid1(VALU_DEP_1)
	v_lshlrev_b64 v[2:3], 2, v[2:3]
	v_add_co_u32 v2, vcc_lo, s12, v2
	s_delay_alu instid0(VALU_DEP_2)
	v_add_co_ci_u32_e32 v3, vcc_lo, s13, v3, vcc_lo
	global_load_b32 v0, v[2:3], off
	s_waitcnt vmcnt(0)
	v_fmac_f32_e32 v1, s2, v0
	global_store_b32 v[2:3], v1, off
.LBB23_36:
	s_nop 0
	s_sendmsg sendmsg(MSG_DEALLOC_VGPRS)
	s_endpgm
.LBB23_37:
	s_branch .LBB23_35
	.section	.rodata,"a",@progbits
	.p2align	6, 0x0
	.amdhsa_kernel _ZN9rocsparseL22gebsrmvn_mxn_16_kernelILj90ELj15ELj6EfEEvi20rocsparse_direction_NS_24const_host_device_scalarIT2_EEPKiS6_PKS3_iiS8_S4_PS3_21rocsparse_index_base_b
		.amdhsa_group_segment_fixed_size 360
		.amdhsa_private_segment_fixed_size 0
		.amdhsa_kernarg_size 80
		.amdhsa_user_sgpr_count 15
		.amdhsa_user_sgpr_dispatch_ptr 0
		.amdhsa_user_sgpr_queue_ptr 0
		.amdhsa_user_sgpr_kernarg_segment_ptr 1
		.amdhsa_user_sgpr_dispatch_id 0
		.amdhsa_user_sgpr_private_segment_size 0
		.amdhsa_wavefront_size32 1
		.amdhsa_uses_dynamic_stack 0
		.amdhsa_enable_private_segment 0
		.amdhsa_system_sgpr_workgroup_id_x 1
		.amdhsa_system_sgpr_workgroup_id_y 0
		.amdhsa_system_sgpr_workgroup_id_z 0
		.amdhsa_system_sgpr_workgroup_info 0
		.amdhsa_system_vgpr_workitem_id 0
		.amdhsa_next_free_vgpr 11
		.amdhsa_next_free_sgpr 18
		.amdhsa_reserve_vcc 1
		.amdhsa_float_round_mode_32 0
		.amdhsa_float_round_mode_16_64 0
		.amdhsa_float_denorm_mode_32 3
		.amdhsa_float_denorm_mode_16_64 3
		.amdhsa_dx10_clamp 1
		.amdhsa_ieee_mode 1
		.amdhsa_fp16_overflow 0
		.amdhsa_workgroup_processor_mode 1
		.amdhsa_memory_ordered 1
		.amdhsa_forward_progress 0
		.amdhsa_shared_vgpr_count 0
		.amdhsa_exception_fp_ieee_invalid_op 0
		.amdhsa_exception_fp_denorm_src 0
		.amdhsa_exception_fp_ieee_div_zero 0
		.amdhsa_exception_fp_ieee_overflow 0
		.amdhsa_exception_fp_ieee_underflow 0
		.amdhsa_exception_fp_ieee_inexact 0
		.amdhsa_exception_int_div_zero 0
	.end_amdhsa_kernel
	.section	.text._ZN9rocsparseL22gebsrmvn_mxn_16_kernelILj90ELj15ELj6EfEEvi20rocsparse_direction_NS_24const_host_device_scalarIT2_EEPKiS6_PKS3_iiS8_S4_PS3_21rocsparse_index_base_b,"axG",@progbits,_ZN9rocsparseL22gebsrmvn_mxn_16_kernelILj90ELj15ELj6EfEEvi20rocsparse_direction_NS_24const_host_device_scalarIT2_EEPKiS6_PKS3_iiS8_S4_PS3_21rocsparse_index_base_b,comdat
.Lfunc_end23:
	.size	_ZN9rocsparseL22gebsrmvn_mxn_16_kernelILj90ELj15ELj6EfEEvi20rocsparse_direction_NS_24const_host_device_scalarIT2_EEPKiS6_PKS3_iiS8_S4_PS3_21rocsparse_index_base_b, .Lfunc_end23-_ZN9rocsparseL22gebsrmvn_mxn_16_kernelILj90ELj15ELj6EfEEvi20rocsparse_direction_NS_24const_host_device_scalarIT2_EEPKiS6_PKS3_iiS8_S4_PS3_21rocsparse_index_base_b
                                        ; -- End function
	.section	.AMDGPU.csdata,"",@progbits
; Kernel info:
; codeLenInByte = 1244
; NumSgprs: 20
; NumVgprs: 11
; ScratchSize: 0
; MemoryBound: 0
; FloatMode: 240
; IeeeMode: 1
; LDSByteSize: 360 bytes/workgroup (compile time only)
; SGPRBlocks: 2
; VGPRBlocks: 1
; NumSGPRsForWavesPerEU: 20
; NumVGPRsForWavesPerEU: 11
; Occupancy: 16
; WaveLimiterHint : 1
; COMPUTE_PGM_RSRC2:SCRATCH_EN: 0
; COMPUTE_PGM_RSRC2:USER_SGPR: 15
; COMPUTE_PGM_RSRC2:TRAP_HANDLER: 0
; COMPUTE_PGM_RSRC2:TGID_X_EN: 1
; COMPUTE_PGM_RSRC2:TGID_Y_EN: 0
; COMPUTE_PGM_RSRC2:TGID_Z_EN: 0
; COMPUTE_PGM_RSRC2:TIDIG_COMP_CNT: 0
	.section	.text._ZN9rocsparseL22gebsrmvn_mxn_16_kernelILj105ELj15ELj7EfEEvi20rocsparse_direction_NS_24const_host_device_scalarIT2_EEPKiS6_PKS3_iiS8_S4_PS3_21rocsparse_index_base_b,"axG",@progbits,_ZN9rocsparseL22gebsrmvn_mxn_16_kernelILj105ELj15ELj7EfEEvi20rocsparse_direction_NS_24const_host_device_scalarIT2_EEPKiS6_PKS3_iiS8_S4_PS3_21rocsparse_index_base_b,comdat
	.globl	_ZN9rocsparseL22gebsrmvn_mxn_16_kernelILj105ELj15ELj7EfEEvi20rocsparse_direction_NS_24const_host_device_scalarIT2_EEPKiS6_PKS3_iiS8_S4_PS3_21rocsparse_index_base_b ; -- Begin function _ZN9rocsparseL22gebsrmvn_mxn_16_kernelILj105ELj15ELj7EfEEvi20rocsparse_direction_NS_24const_host_device_scalarIT2_EEPKiS6_PKS3_iiS8_S4_PS3_21rocsparse_index_base_b
	.p2align	8
	.type	_ZN9rocsparseL22gebsrmvn_mxn_16_kernelILj105ELj15ELj7EfEEvi20rocsparse_direction_NS_24const_host_device_scalarIT2_EEPKiS6_PKS3_iiS8_S4_PS3_21rocsparse_index_base_b,@function
_ZN9rocsparseL22gebsrmvn_mxn_16_kernelILj105ELj15ELj7EfEEvi20rocsparse_direction_NS_24const_host_device_scalarIT2_EEPKiS6_PKS3_iiS8_S4_PS3_21rocsparse_index_base_b: ; @_ZN9rocsparseL22gebsrmvn_mxn_16_kernelILj105ELj15ELj7EfEEvi20rocsparse_direction_NS_24const_host_device_scalarIT2_EEPKiS6_PKS3_iiS8_S4_PS3_21rocsparse_index_base_b
; %bb.0:
	s_mov_b32 s8, s15
	s_clause 0x2
	s_load_b64 s[14:15], s[0:1], 0x48
	s_load_b64 s[10:11], s[0:1], 0x8
	;; [unrolled: 1-line block ×3, first 2 shown]
	s_waitcnt lgkmcnt(0)
	s_bitcmp1_b32 s15, 0
	s_cselect_b32 s4, -1, 0
	s_delay_alu instid0(SALU_CYCLE_1)
	s_and_b32 vcc_lo, exec_lo, s4
	s_xor_b32 s4, s4, -1
	s_cbranch_vccnz .LBB24_2
; %bb.1:
	s_load_b32 s10, s[10:11], 0x0
.LBB24_2:
	s_and_not1_b32 vcc_lo, exec_lo, s4
	s_cbranch_vccnz .LBB24_4
; %bb.3:
	s_load_b32 s2, s[2:3], 0x0
.LBB24_4:
	s_waitcnt lgkmcnt(0)
	v_cmp_eq_f32_e64 s3, s10, 0
	v_cmp_eq_f32_e64 s4, s2, 1.0
	s_delay_alu instid0(VALU_DEP_1) | instskip(NEXT) | instid1(SALU_CYCLE_1)
	s_and_b32 s3, s3, s4
	s_and_b32 vcc_lo, exec_lo, s3
	s_cbranch_vccnz .LBB24_36
; %bb.5:
	v_mul_u32_u24_e32 v1, 0x2493, v0
	s_clause 0x1
	s_load_b32 s3, s[0:1], 0x4
	s_load_b64 s[4:5], s[0:1], 0x10
	s_delay_alu instid0(VALU_DEP_1) | instskip(NEXT) | instid1(VALU_DEP_1)
	v_lshrrev_b32_e32 v1, 16, v1
	v_mul_lo_u16 v1, v1, 7
	s_delay_alu instid0(VALU_DEP_1) | instskip(NEXT) | instid1(VALU_DEP_1)
	v_sub_nc_u16 v1, v0, v1
	v_and_b32_e32 v7, 0xffff, v1
	s_waitcnt lgkmcnt(0)
	s_cmp_lg_u32 s3, 1
	v_and_b32_e32 v2, 0xffff, v0
	s_cselect_b32 s3, -1, 0
	v_mov_b32_e32 v1, v7
	s_and_b32 vcc_lo, exec_lo, s3
	s_cbranch_vccnz .LBB24_7
; %bb.6:
	v_mul_u32_u24_e32 v1, 0x1112, v2
	s_delay_alu instid0(VALU_DEP_1) | instskip(NEXT) | instid1(VALU_DEP_1)
	v_lshrrev_b32_e32 v1, 16, v1
	v_mul_lo_u16 v3, v1, 37
	s_delay_alu instid0(VALU_DEP_1) | instskip(NEXT) | instid1(VALU_DEP_1)
	v_lshrrev_b16 v3, 8, v3
	v_mul_lo_u16 v3, v3, 7
	s_delay_alu instid0(VALU_DEP_1) | instskip(NEXT) | instid1(VALU_DEP_1)
	v_sub_nc_u16 v1, v1, v3
	v_and_b32_e32 v1, 0xff, v1
.LBB24_7:
	s_ashr_i32 s9, s8, 31
	v_mov_b32_e32 v6, 0
	s_lshl_b64 s[6:7], s[8:9], 2
	s_delay_alu instid0(SALU_CYCLE_1)
	s_add_u32 s4, s4, s6
	s_addc_u32 s5, s5, s7
	s_load_b64 s[16:17], s[4:5], 0x0
	s_load_b64 s[12:13], s[0:1], 0x40
	s_waitcnt lgkmcnt(0)
	s_cmp_ge_i32 s16, s17
	s_cbranch_scc1 .LBB24_12
; %bb.8:
	s_clause 0x1
	s_load_b128 s[4:7], s[0:1], 0x18
	s_load_b64 s[0:1], s[0:1], 0x30
	v_mad_u64_u32 v[4:5], null, 0x69, s16, v[0:1]
	v_mul_u32_u24_e32 v2, 0x271, v2
	v_mov_b32_e32 v3, 0
	s_mul_i32 s9, s14, 0x69
	s_sub_i32 s11, s16, s14
	s_delay_alu instid0(VALU_DEP_2) | instskip(NEXT) | instid1(VALU_DEP_4)
	v_lshrrev_b32_e32 v8, 16, v2
	v_subrev_nc_u32_e32 v2, s9, v4
	v_mov_b32_e32 v6, v3
	s_sub_i32 s9, s17, s14
	s_set_inst_prefetch_distance 0x1
	s_branch .LBB24_10
	.p2align	6
.LBB24_9:                               ;   in Loop: Header=BB24_10 Depth=1
	s_or_b32 exec_lo, exec_lo, s15
	v_add_nc_u32_e32 v2, 0x69, v2
	s_add_i32 s11, s11, 1
	s_delay_alu instid0(SALU_CYCLE_1)
	s_cmp_ge_i32 s11, s9
	s_cbranch_scc1 .LBB24_12
.LBB24_10:                              ; =>This Inner Loop Header: Depth=1
	v_add_nc_u32_e32 v4, s11, v8
	s_mov_b32 s15, exec_lo
	s_delay_alu instid0(VALU_DEP_1)
	v_cmpx_gt_i32_e64 s9, v4
	s_cbranch_execz .LBB24_9
; %bb.11:                               ;   in Loop: Header=BB24_10 Depth=1
	v_ashrrev_i32_e32 v5, 31, v4
	s_delay_alu instid0(VALU_DEP_1) | instskip(SKIP_1) | instid1(VALU_DEP_1)
	v_lshlrev_b64 v[4:5], 2, v[4:5]
	s_waitcnt lgkmcnt(0)
	v_add_co_u32 v4, vcc_lo, s4, v4
	s_delay_alu instid0(VALU_DEP_2) | instskip(SKIP_3) | instid1(VALU_DEP_1)
	v_add_co_ci_u32_e32 v5, vcc_lo, s5, v5, vcc_lo
	global_load_b32 v4, v[4:5], off
	s_waitcnt vmcnt(0)
	v_subrev_nc_u32_e32 v9, s14, v4
	v_mad_u64_u32 v[4:5], null, v9, 7, v[1:2]
	v_lshlrev_b64 v[9:10], 2, v[2:3]
	s_delay_alu instid0(VALU_DEP_1) | instskip(NEXT) | instid1(VALU_DEP_3)
	v_add_co_u32 v9, vcc_lo, s6, v9
	v_ashrrev_i32_e32 v5, 31, v4
	s_delay_alu instid0(VALU_DEP_3) | instskip(NEXT) | instid1(VALU_DEP_2)
	v_add_co_ci_u32_e32 v10, vcc_lo, s7, v10, vcc_lo
	v_lshlrev_b64 v[4:5], 2, v[4:5]
	s_delay_alu instid0(VALU_DEP_1) | instskip(NEXT) | instid1(VALU_DEP_2)
	v_add_co_u32 v4, vcc_lo, s0, v4
	v_add_co_ci_u32_e32 v5, vcc_lo, s1, v5, vcc_lo
	global_load_b32 v9, v[9:10], off
	global_load_b32 v4, v[4:5], off
	s_waitcnt vmcnt(0)
	v_fmac_f32_e32 v6, v9, v4
	s_branch .LBB24_9
.LBB24_12:
	s_set_inst_prefetch_distance 0x2
	v_lshlrev_b32_e32 v1, 2, v0
	s_and_b32 vcc_lo, exec_lo, s3
	ds_store_b32 v1, v6
	s_waitcnt lgkmcnt(0)
	s_barrier
	buffer_gl0_inv
	s_cbranch_vccz .LBB24_22
; %bb.13:
	s_mov_b32 s0, exec_lo
	v_cmpx_gt_u16_e32 3, v7
	s_cbranch_execz .LBB24_15
; %bb.14:
	ds_load_2addr_b32 v[2:3], v1 offset1:4
	s_waitcnt lgkmcnt(0)
	v_add_f32_e32 v2, v3, v2
	ds_store_b32 v1, v2
.LBB24_15:
	s_or_b32 exec_lo, exec_lo, s0
	s_delay_alu instid0(SALU_CYCLE_1)
	s_mov_b32 s0, exec_lo
	s_waitcnt lgkmcnt(0)
	s_barrier
	buffer_gl0_inv
	v_cmpx_gt_u16_e32 2, v7
	s_cbranch_execz .LBB24_17
; %bb.16:
	ds_load_2addr_b32 v[2:3], v1 offset1:2
	s_waitcnt lgkmcnt(0)
	v_add_f32_e32 v2, v3, v2
	ds_store_b32 v1, v2
.LBB24_17:
	s_or_b32 exec_lo, exec_lo, s0
	s_delay_alu instid0(SALU_CYCLE_1)
	s_mov_b32 s0, exec_lo
	s_waitcnt lgkmcnt(0)
	s_barrier
	buffer_gl0_inv
	v_cmpx_eq_u16_e32 0, v7
	s_cbranch_execz .LBB24_19
; %bb.18:
	ds_load_2addr_b32 v[2:3], v1 offset1:1
	s_waitcnt lgkmcnt(0)
	v_add_f32_e32 v2, v3, v2
	ds_store_b32 v1, v2
.LBB24_19:
	s_or_b32 exec_lo, exec_lo, s0
	v_mov_b32_e32 v2, v6
	s_mov_b32 s0, exec_lo
	s_waitcnt lgkmcnt(0)
	s_barrier
	buffer_gl0_inv
	v_cmpx_gt_u32_e32 15, v0
	s_cbranch_execz .LBB24_21
; %bb.20:
	v_mad_u32_u24 v2, v0, 24, v1
	ds_load_b32 v2, v2
.LBB24_21:
	s_or_b32 exec_lo, exec_lo, s0
	s_branch .LBB24_32
.LBB24_22:
                                        ; implicit-def: $vgpr2
	s_cbranch_execz .LBB24_32
; %bb.23:
	s_mov_b32 s0, exec_lo
	v_cmpx_gt_u32_e32 45, v0
	s_cbranch_execz .LBB24_25
; %bb.24:
	s_waitcnt lgkmcnt(0)
	ds_load_2addr_b32 v[2:3], v1 offset1:60
	s_waitcnt lgkmcnt(0)
	v_add_f32_e32 v2, v3, v2
	ds_store_b32 v1, v2
.LBB24_25:
	s_or_b32 exec_lo, exec_lo, s0
	s_delay_alu instid0(SALU_CYCLE_1)
	s_mov_b32 s0, exec_lo
	s_waitcnt lgkmcnt(0)
	s_barrier
	buffer_gl0_inv
	v_cmpx_gt_u32_e32 30, v0
	s_cbranch_execz .LBB24_27
; %bb.26:
	ds_load_2addr_b32 v[2:3], v1 offset1:30
	s_waitcnt lgkmcnt(0)
	v_add_f32_e32 v2, v3, v2
	ds_store_b32 v1, v2
.LBB24_27:
	s_or_b32 exec_lo, exec_lo, s0
	s_delay_alu instid0(SALU_CYCLE_1)
	s_mov_b32 s0, exec_lo
	s_waitcnt lgkmcnt(0)
	buffer_gl0_inv
	v_cmpx_lt_u32_e32 14, v0
	s_xor_b32 s0, exec_lo, s0
	s_cbranch_execz .LBB24_29
; %bb.28:
	buffer_gl0_inv
                                        ; implicit-def: $vgpr1
.LBB24_29:
	s_and_not1_saveexec_b32 s0, s0
	s_cbranch_execz .LBB24_31
; %bb.30:
	ds_load_2addr_b32 v[2:3], v1 offset1:15
	s_waitcnt lgkmcnt(0)
	v_add_f32_e32 v2, v3, v2
	ds_store_b32 v1, v2
	s_waitcnt lgkmcnt(0)
	buffer_gl0_inv
	ds_load_b32 v6, v1
.LBB24_31:
	s_or_b32 exec_lo, exec_lo, s0
	s_waitcnt lgkmcnt(0)
	v_mov_b32_e32 v2, v6
.LBB24_32:
	s_mov_b32 s0, exec_lo
	v_cmpx_gt_u32_e32 15, v0
	s_cbranch_execz .LBB24_36
; %bb.33:
	v_cmp_eq_f32_e64 s0, s2, 0
	s_waitcnt lgkmcnt(0)
	v_mul_f32_e32 v1, s10, v2
	s_delay_alu instid0(VALU_DEP_2)
	s_and_b32 vcc_lo, exec_lo, s0
	s_mov_b32 s0, 0
	s_cbranch_vccz .LBB24_37
; %bb.34:
	s_delay_alu instid0(VALU_DEP_1) | instskip(SKIP_1) | instid1(VALU_DEP_1)
	v_mad_u64_u32 v[2:3], null, s8, 15, v[0:1]
	v_mov_b32_e32 v3, 0
	v_lshlrev_b64 v[2:3], 2, v[2:3]
	s_delay_alu instid0(VALU_DEP_1) | instskip(NEXT) | instid1(VALU_DEP_2)
	v_add_co_u32 v2, vcc_lo, s12, v2
	v_add_co_ci_u32_e32 v3, vcc_lo, s13, v3, vcc_lo
	global_store_b32 v[2:3], v1, off
	s_and_not1_b32 vcc_lo, exec_lo, s0
	s_cbranch_vccnz .LBB24_36
.LBB24_35:
	v_mad_u64_u32 v[2:3], null, s8, 15, v[0:1]
	v_mov_b32_e32 v3, 0
	s_delay_alu instid0(VALU_DEP_1) | instskip(NEXT) | instid1(VALU_DEP_1)
	v_lshlrev_b64 v[2:3], 2, v[2:3]
	v_add_co_u32 v2, vcc_lo, s12, v2
	s_delay_alu instid0(VALU_DEP_2)
	v_add_co_ci_u32_e32 v3, vcc_lo, s13, v3, vcc_lo
	global_load_b32 v0, v[2:3], off
	s_waitcnt vmcnt(0)
	v_fmac_f32_e32 v1, s2, v0
	global_store_b32 v[2:3], v1, off
.LBB24_36:
	s_nop 0
	s_sendmsg sendmsg(MSG_DEALLOC_VGPRS)
	s_endpgm
.LBB24_37:
	s_branch .LBB24_35
	.section	.rodata,"a",@progbits
	.p2align	6, 0x0
	.amdhsa_kernel _ZN9rocsparseL22gebsrmvn_mxn_16_kernelILj105ELj15ELj7EfEEvi20rocsparse_direction_NS_24const_host_device_scalarIT2_EEPKiS6_PKS3_iiS8_S4_PS3_21rocsparse_index_base_b
		.amdhsa_group_segment_fixed_size 420
		.amdhsa_private_segment_fixed_size 0
		.amdhsa_kernarg_size 80
		.amdhsa_user_sgpr_count 15
		.amdhsa_user_sgpr_dispatch_ptr 0
		.amdhsa_user_sgpr_queue_ptr 0
		.amdhsa_user_sgpr_kernarg_segment_ptr 1
		.amdhsa_user_sgpr_dispatch_id 0
		.amdhsa_user_sgpr_private_segment_size 0
		.amdhsa_wavefront_size32 1
		.amdhsa_uses_dynamic_stack 0
		.amdhsa_enable_private_segment 0
		.amdhsa_system_sgpr_workgroup_id_x 1
		.amdhsa_system_sgpr_workgroup_id_y 0
		.amdhsa_system_sgpr_workgroup_id_z 0
		.amdhsa_system_sgpr_workgroup_info 0
		.amdhsa_system_vgpr_workitem_id 0
		.amdhsa_next_free_vgpr 11
		.amdhsa_next_free_sgpr 18
		.amdhsa_reserve_vcc 1
		.amdhsa_float_round_mode_32 0
		.amdhsa_float_round_mode_16_64 0
		.amdhsa_float_denorm_mode_32 3
		.amdhsa_float_denorm_mode_16_64 3
		.amdhsa_dx10_clamp 1
		.amdhsa_ieee_mode 1
		.amdhsa_fp16_overflow 0
		.amdhsa_workgroup_processor_mode 1
		.amdhsa_memory_ordered 1
		.amdhsa_forward_progress 0
		.amdhsa_shared_vgpr_count 0
		.amdhsa_exception_fp_ieee_invalid_op 0
		.amdhsa_exception_fp_denorm_src 0
		.amdhsa_exception_fp_ieee_div_zero 0
		.amdhsa_exception_fp_ieee_overflow 0
		.amdhsa_exception_fp_ieee_underflow 0
		.amdhsa_exception_fp_ieee_inexact 0
		.amdhsa_exception_int_div_zero 0
	.end_amdhsa_kernel
	.section	.text._ZN9rocsparseL22gebsrmvn_mxn_16_kernelILj105ELj15ELj7EfEEvi20rocsparse_direction_NS_24const_host_device_scalarIT2_EEPKiS6_PKS3_iiS8_S4_PS3_21rocsparse_index_base_b,"axG",@progbits,_ZN9rocsparseL22gebsrmvn_mxn_16_kernelILj105ELj15ELj7EfEEvi20rocsparse_direction_NS_24const_host_device_scalarIT2_EEPKiS6_PKS3_iiS8_S4_PS3_21rocsparse_index_base_b,comdat
.Lfunc_end24:
	.size	_ZN9rocsparseL22gebsrmvn_mxn_16_kernelILj105ELj15ELj7EfEEvi20rocsparse_direction_NS_24const_host_device_scalarIT2_EEPKiS6_PKS3_iiS8_S4_PS3_21rocsparse_index_base_b, .Lfunc_end24-_ZN9rocsparseL22gebsrmvn_mxn_16_kernelILj105ELj15ELj7EfEEvi20rocsparse_direction_NS_24const_host_device_scalarIT2_EEPKiS6_PKS3_iiS8_S4_PS3_21rocsparse_index_base_b
                                        ; -- End function
	.section	.AMDGPU.csdata,"",@progbits
; Kernel info:
; codeLenInByte = 1260
; NumSgprs: 20
; NumVgprs: 11
; ScratchSize: 0
; MemoryBound: 0
; FloatMode: 240
; IeeeMode: 1
; LDSByteSize: 420 bytes/workgroup (compile time only)
; SGPRBlocks: 2
; VGPRBlocks: 1
; NumSGPRsForWavesPerEU: 20
; NumVGPRsForWavesPerEU: 11
; Occupancy: 16
; WaveLimiterHint : 1
; COMPUTE_PGM_RSRC2:SCRATCH_EN: 0
; COMPUTE_PGM_RSRC2:USER_SGPR: 15
; COMPUTE_PGM_RSRC2:TRAP_HANDLER: 0
; COMPUTE_PGM_RSRC2:TGID_X_EN: 1
; COMPUTE_PGM_RSRC2:TGID_Y_EN: 0
; COMPUTE_PGM_RSRC2:TGID_Z_EN: 0
; COMPUTE_PGM_RSRC2:TIDIG_COMP_CNT: 0
	.section	.text._ZN9rocsparseL22gebsrmvn_mxn_16_kernelILj120ELj15ELj8EfEEvi20rocsparse_direction_NS_24const_host_device_scalarIT2_EEPKiS6_PKS3_iiS8_S4_PS3_21rocsparse_index_base_b,"axG",@progbits,_ZN9rocsparseL22gebsrmvn_mxn_16_kernelILj120ELj15ELj8EfEEvi20rocsparse_direction_NS_24const_host_device_scalarIT2_EEPKiS6_PKS3_iiS8_S4_PS3_21rocsparse_index_base_b,comdat
	.globl	_ZN9rocsparseL22gebsrmvn_mxn_16_kernelILj120ELj15ELj8EfEEvi20rocsparse_direction_NS_24const_host_device_scalarIT2_EEPKiS6_PKS3_iiS8_S4_PS3_21rocsparse_index_base_b ; -- Begin function _ZN9rocsparseL22gebsrmvn_mxn_16_kernelILj120ELj15ELj8EfEEvi20rocsparse_direction_NS_24const_host_device_scalarIT2_EEPKiS6_PKS3_iiS8_S4_PS3_21rocsparse_index_base_b
	.p2align	8
	.type	_ZN9rocsparseL22gebsrmvn_mxn_16_kernelILj120ELj15ELj8EfEEvi20rocsparse_direction_NS_24const_host_device_scalarIT2_EEPKiS6_PKS3_iiS8_S4_PS3_21rocsparse_index_base_b,@function
_ZN9rocsparseL22gebsrmvn_mxn_16_kernelILj120ELj15ELj8EfEEvi20rocsparse_direction_NS_24const_host_device_scalarIT2_EEPKiS6_PKS3_iiS8_S4_PS3_21rocsparse_index_base_b: ; @_ZN9rocsparseL22gebsrmvn_mxn_16_kernelILj120ELj15ELj8EfEEvi20rocsparse_direction_NS_24const_host_device_scalarIT2_EEPKiS6_PKS3_iiS8_S4_PS3_21rocsparse_index_base_b
; %bb.0:
	s_mov_b32 s8, s15
	s_clause 0x2
	s_load_b64 s[14:15], s[0:1], 0x48
	s_load_b64 s[10:11], s[0:1], 0x8
	;; [unrolled: 1-line block ×3, first 2 shown]
	s_waitcnt lgkmcnt(0)
	s_bitcmp1_b32 s15, 0
	s_cselect_b32 s4, -1, 0
	s_delay_alu instid0(SALU_CYCLE_1)
	s_and_b32 vcc_lo, exec_lo, s4
	s_xor_b32 s4, s4, -1
	s_cbranch_vccnz .LBB25_2
; %bb.1:
	s_load_b32 s10, s[10:11], 0x0
.LBB25_2:
	s_and_not1_b32 vcc_lo, exec_lo, s4
	s_cbranch_vccnz .LBB25_4
; %bb.3:
	s_load_b32 s2, s[2:3], 0x0
.LBB25_4:
	s_waitcnt lgkmcnt(0)
	v_cmp_eq_f32_e64 s3, s10, 0
	v_cmp_eq_f32_e64 s4, s2, 1.0
	s_delay_alu instid0(VALU_DEP_1) | instskip(NEXT) | instid1(SALU_CYCLE_1)
	s_and_b32 s3, s3, s4
	s_and_b32 vcc_lo, exec_lo, s3
	s_cbranch_vccnz .LBB25_36
; %bb.5:
	s_clause 0x1
	s_load_b32 s3, s[0:1], 0x4
	s_load_b64 s[4:5], s[0:1], 0x10
	v_and_b32_e32 v6, 7, v0
	s_delay_alu instid0(VALU_DEP_1) | instskip(SKIP_3) | instid1(SALU_CYCLE_1)
	v_mov_b32_e32 v7, v6
	s_waitcnt lgkmcnt(0)
	s_cmp_lg_u32 s3, 1
	s_cselect_b32 s3, -1, 0
	s_and_b32 vcc_lo, exec_lo, s3
	s_cbranch_vccnz .LBB25_7
; %bb.6:
	v_mul_u32_u24_e32 v1, 0x1112, v0
	s_delay_alu instid0(VALU_DEP_1)
	v_bfe_u32 v7, v1, 16, 3
.LBB25_7:
	s_ashr_i32 s9, s8, 31
	v_mov_b32_e32 v5, 0
	s_lshl_b64 s[6:7], s[8:9], 2
	s_delay_alu instid0(SALU_CYCLE_1)
	s_add_u32 s4, s4, s6
	s_addc_u32 s5, s5, s7
	s_load_b64 s[16:17], s[4:5], 0x0
	s_load_b64 s[12:13], s[0:1], 0x40
	s_waitcnt lgkmcnt(0)
	s_cmp_ge_i32 s16, s17
	s_cbranch_scc1 .LBB25_12
; %bb.8:
	s_clause 0x1
	s_load_b128 s[4:7], s[0:1], 0x18
	s_load_b64 s[0:1], s[0:1], 0x30
	v_mad_u64_u32 v[1:2], null, 0x78, s16, v[0:1]
	v_mul_u32_u24_e32 v3, 0x223, v0
	v_mov_b32_e32 v2, 0
	s_mul_i32 s9, s14, 0x78
	s_sub_i32 s11, s16, s14
	s_delay_alu instid0(VALU_DEP_2) | instskip(NEXT) | instid1(VALU_DEP_4)
	v_lshrrev_b32_e32 v8, 16, v3
	v_subrev_nc_u32_e32 v1, s9, v1
	v_mov_b32_e32 v5, v2
	s_sub_i32 s9, s17, s14
	s_set_inst_prefetch_distance 0x1
	s_branch .LBB25_10
	.p2align	6
.LBB25_9:                               ;   in Loop: Header=BB25_10 Depth=1
	s_or_b32 exec_lo, exec_lo, s15
	v_add_nc_u32_e32 v1, 0x78, v1
	s_add_i32 s11, s11, 1
	s_delay_alu instid0(SALU_CYCLE_1)
	s_cmp_ge_i32 s11, s9
	s_cbranch_scc1 .LBB25_12
.LBB25_10:                              ; =>This Inner Loop Header: Depth=1
	v_add_nc_u32_e32 v3, s11, v8
	s_mov_b32 s15, exec_lo
	s_delay_alu instid0(VALU_DEP_1)
	v_cmpx_gt_i32_e64 s9, v3
	s_cbranch_execz .LBB25_9
; %bb.11:                               ;   in Loop: Header=BB25_10 Depth=1
	v_ashrrev_i32_e32 v4, 31, v3
	v_lshlrev_b64 v[9:10], 2, v[1:2]
	s_delay_alu instid0(VALU_DEP_2) | instskip(SKIP_1) | instid1(VALU_DEP_1)
	v_lshlrev_b64 v[3:4], 2, v[3:4]
	s_waitcnt lgkmcnt(0)
	v_add_co_u32 v3, vcc_lo, s4, v3
	s_delay_alu instid0(VALU_DEP_2) | instskip(NEXT) | instid1(VALU_DEP_4)
	v_add_co_ci_u32_e32 v4, vcc_lo, s5, v4, vcc_lo
	v_add_co_u32 v9, vcc_lo, s6, v9
	v_add_co_ci_u32_e32 v10, vcc_lo, s7, v10, vcc_lo
	global_load_b32 v3, v[3:4], off
	s_waitcnt vmcnt(0)
	v_subrev_nc_u32_e32 v3, s14, v3
	s_delay_alu instid0(VALU_DEP_1) | instskip(NEXT) | instid1(VALU_DEP_1)
	v_lshl_or_b32 v3, v3, 3, v7
	v_ashrrev_i32_e32 v4, 31, v3
	s_delay_alu instid0(VALU_DEP_1) | instskip(NEXT) | instid1(VALU_DEP_1)
	v_lshlrev_b64 v[3:4], 2, v[3:4]
	v_add_co_u32 v3, vcc_lo, s0, v3
	s_delay_alu instid0(VALU_DEP_2)
	v_add_co_ci_u32_e32 v4, vcc_lo, s1, v4, vcc_lo
	global_load_b32 v9, v[9:10], off
	global_load_b32 v3, v[3:4], off
	s_waitcnt vmcnt(0)
	v_fmac_f32_e32 v5, v9, v3
	s_branch .LBB25_9
.LBB25_12:
	s_set_inst_prefetch_distance 0x2
	v_lshlrev_b32_e32 v1, 2, v0
	s_and_b32 vcc_lo, exec_lo, s3
	ds_store_b32 v1, v5
	s_waitcnt lgkmcnt(0)
	s_barrier
	buffer_gl0_inv
	s_cbranch_vccz .LBB25_22
; %bb.13:
	s_mov_b32 s0, exec_lo
	v_cmpx_gt_u32_e32 4, v6
	s_cbranch_execz .LBB25_15
; %bb.14:
	ds_load_2addr_b32 v[2:3], v1 offset1:4
	s_waitcnt lgkmcnt(0)
	v_add_f32_e32 v2, v3, v2
	ds_store_b32 v1, v2
.LBB25_15:
	s_or_b32 exec_lo, exec_lo, s0
	s_delay_alu instid0(SALU_CYCLE_1)
	s_mov_b32 s0, exec_lo
	s_waitcnt lgkmcnt(0)
	s_barrier
	buffer_gl0_inv
	v_cmpx_gt_u32_e32 2, v6
	s_cbranch_execz .LBB25_17
; %bb.16:
	ds_load_2addr_b32 v[2:3], v1 offset1:2
	s_waitcnt lgkmcnt(0)
	v_add_f32_e32 v2, v3, v2
	ds_store_b32 v1, v2
.LBB25_17:
	s_or_b32 exec_lo, exec_lo, s0
	s_delay_alu instid0(SALU_CYCLE_1)
	s_mov_b32 s0, exec_lo
	s_waitcnt lgkmcnt(0)
	s_barrier
	buffer_gl0_inv
	v_cmpx_eq_u32_e32 0, v6
	s_cbranch_execz .LBB25_19
; %bb.18:
	ds_load_2addr_b32 v[2:3], v1 offset1:1
	s_waitcnt lgkmcnt(0)
	v_add_f32_e32 v2, v3, v2
	ds_store_b32 v1, v2
.LBB25_19:
	s_or_b32 exec_lo, exec_lo, s0
	v_mov_b32_e32 v2, v5
	s_mov_b32 s0, exec_lo
	s_waitcnt lgkmcnt(0)
	s_barrier
	buffer_gl0_inv
	v_cmpx_gt_u32_e32 15, v0
	s_cbranch_execz .LBB25_21
; %bb.20:
	v_mad_u32_u24 v2, v0, 28, v1
	ds_load_b32 v2, v2
.LBB25_21:
	s_or_b32 exec_lo, exec_lo, s0
	s_branch .LBB25_32
.LBB25_22:
                                        ; implicit-def: $vgpr2
	s_cbranch_execz .LBB25_32
; %bb.23:
	s_mov_b32 s0, exec_lo
	v_cmpx_gt_u32_e32 60, v0
	s_cbranch_execz .LBB25_25
; %bb.24:
	s_waitcnt lgkmcnt(0)
	ds_load_2addr_b32 v[2:3], v1 offset1:60
	s_waitcnt lgkmcnt(0)
	v_add_f32_e32 v2, v3, v2
	ds_store_b32 v1, v2
.LBB25_25:
	s_or_b32 exec_lo, exec_lo, s0
	s_delay_alu instid0(SALU_CYCLE_1)
	s_mov_b32 s0, exec_lo
	s_waitcnt lgkmcnt(0)
	s_barrier
	buffer_gl0_inv
	v_cmpx_gt_u32_e32 30, v0
	s_cbranch_execz .LBB25_27
; %bb.26:
	ds_load_2addr_b32 v[2:3], v1 offset1:30
	s_waitcnt lgkmcnt(0)
	v_add_f32_e32 v2, v3, v2
	ds_store_b32 v1, v2
.LBB25_27:
	s_or_b32 exec_lo, exec_lo, s0
	s_delay_alu instid0(SALU_CYCLE_1)
	s_mov_b32 s0, exec_lo
	s_waitcnt lgkmcnt(0)
	buffer_gl0_inv
	v_cmpx_lt_u32_e32 14, v0
	s_xor_b32 s0, exec_lo, s0
	s_cbranch_execz .LBB25_29
; %bb.28:
	buffer_gl0_inv
                                        ; implicit-def: $vgpr1
.LBB25_29:
	s_and_not1_saveexec_b32 s0, s0
	s_cbranch_execz .LBB25_31
; %bb.30:
	ds_load_2addr_b32 v[2:3], v1 offset1:15
	s_waitcnt lgkmcnt(0)
	v_add_f32_e32 v2, v3, v2
	ds_store_b32 v1, v2
	s_waitcnt lgkmcnt(0)
	buffer_gl0_inv
	ds_load_b32 v5, v1
.LBB25_31:
	s_or_b32 exec_lo, exec_lo, s0
	s_waitcnt lgkmcnt(0)
	v_mov_b32_e32 v2, v5
.LBB25_32:
	s_mov_b32 s0, exec_lo
	v_cmpx_gt_u32_e32 15, v0
	s_cbranch_execz .LBB25_36
; %bb.33:
	v_cmp_eq_f32_e64 s0, s2, 0
	s_waitcnt lgkmcnt(0)
	v_mul_f32_e32 v1, s10, v2
	s_delay_alu instid0(VALU_DEP_2)
	s_and_b32 vcc_lo, exec_lo, s0
	s_mov_b32 s0, 0
	s_cbranch_vccz .LBB25_37
; %bb.34:
	s_delay_alu instid0(VALU_DEP_1) | instskip(SKIP_1) | instid1(VALU_DEP_1)
	v_mad_u64_u32 v[2:3], null, s8, 15, v[0:1]
	v_mov_b32_e32 v3, 0
	v_lshlrev_b64 v[2:3], 2, v[2:3]
	s_delay_alu instid0(VALU_DEP_1) | instskip(NEXT) | instid1(VALU_DEP_2)
	v_add_co_u32 v2, vcc_lo, s12, v2
	v_add_co_ci_u32_e32 v3, vcc_lo, s13, v3, vcc_lo
	global_store_b32 v[2:3], v1, off
	s_and_not1_b32 vcc_lo, exec_lo, s0
	s_cbranch_vccnz .LBB25_36
.LBB25_35:
	v_mad_u64_u32 v[2:3], null, s8, 15, v[0:1]
	v_mov_b32_e32 v3, 0
	s_delay_alu instid0(VALU_DEP_1) | instskip(NEXT) | instid1(VALU_DEP_1)
	v_lshlrev_b64 v[2:3], 2, v[2:3]
	v_add_co_u32 v2, vcc_lo, s12, v2
	s_delay_alu instid0(VALU_DEP_2)
	v_add_co_ci_u32_e32 v3, vcc_lo, s13, v3, vcc_lo
	global_load_b32 v0, v[2:3], off
	s_waitcnt vmcnt(0)
	v_fmac_f32_e32 v1, s2, v0
	global_store_b32 v[2:3], v1, off
.LBB25_36:
	s_nop 0
	s_sendmsg sendmsg(MSG_DEALLOC_VGPRS)
	s_endpgm
.LBB25_37:
	s_branch .LBB25_35
	.section	.rodata,"a",@progbits
	.p2align	6, 0x0
	.amdhsa_kernel _ZN9rocsparseL22gebsrmvn_mxn_16_kernelILj120ELj15ELj8EfEEvi20rocsparse_direction_NS_24const_host_device_scalarIT2_EEPKiS6_PKS3_iiS8_S4_PS3_21rocsparse_index_base_b
		.amdhsa_group_segment_fixed_size 480
		.amdhsa_private_segment_fixed_size 0
		.amdhsa_kernarg_size 80
		.amdhsa_user_sgpr_count 15
		.amdhsa_user_sgpr_dispatch_ptr 0
		.amdhsa_user_sgpr_queue_ptr 0
		.amdhsa_user_sgpr_kernarg_segment_ptr 1
		.amdhsa_user_sgpr_dispatch_id 0
		.amdhsa_user_sgpr_private_segment_size 0
		.amdhsa_wavefront_size32 1
		.amdhsa_uses_dynamic_stack 0
		.amdhsa_enable_private_segment 0
		.amdhsa_system_sgpr_workgroup_id_x 1
		.amdhsa_system_sgpr_workgroup_id_y 0
		.amdhsa_system_sgpr_workgroup_id_z 0
		.amdhsa_system_sgpr_workgroup_info 0
		.amdhsa_system_vgpr_workitem_id 0
		.amdhsa_next_free_vgpr 11
		.amdhsa_next_free_sgpr 18
		.amdhsa_reserve_vcc 1
		.amdhsa_float_round_mode_32 0
		.amdhsa_float_round_mode_16_64 0
		.amdhsa_float_denorm_mode_32 3
		.amdhsa_float_denorm_mode_16_64 3
		.amdhsa_dx10_clamp 1
		.amdhsa_ieee_mode 1
		.amdhsa_fp16_overflow 0
		.amdhsa_workgroup_processor_mode 1
		.amdhsa_memory_ordered 1
		.amdhsa_forward_progress 0
		.amdhsa_shared_vgpr_count 0
		.amdhsa_exception_fp_ieee_invalid_op 0
		.amdhsa_exception_fp_denorm_src 0
		.amdhsa_exception_fp_ieee_div_zero 0
		.amdhsa_exception_fp_ieee_overflow 0
		.amdhsa_exception_fp_ieee_underflow 0
		.amdhsa_exception_fp_ieee_inexact 0
		.amdhsa_exception_int_div_zero 0
	.end_amdhsa_kernel
	.section	.text._ZN9rocsparseL22gebsrmvn_mxn_16_kernelILj120ELj15ELj8EfEEvi20rocsparse_direction_NS_24const_host_device_scalarIT2_EEPKiS6_PKS3_iiS8_S4_PS3_21rocsparse_index_base_b,"axG",@progbits,_ZN9rocsparseL22gebsrmvn_mxn_16_kernelILj120ELj15ELj8EfEEvi20rocsparse_direction_NS_24const_host_device_scalarIT2_EEPKiS6_PKS3_iiS8_S4_PS3_21rocsparse_index_base_b,comdat
.Lfunc_end25:
	.size	_ZN9rocsparseL22gebsrmvn_mxn_16_kernelILj120ELj15ELj8EfEEvi20rocsparse_direction_NS_24const_host_device_scalarIT2_EEPKiS6_PKS3_iiS8_S4_PS3_21rocsparse_index_base_b, .Lfunc_end25-_ZN9rocsparseL22gebsrmvn_mxn_16_kernelILj120ELj15ELj8EfEEvi20rocsparse_direction_NS_24const_host_device_scalarIT2_EEPKiS6_PKS3_iiS8_S4_PS3_21rocsparse_index_base_b
                                        ; -- End function
	.section	.AMDGPU.csdata,"",@progbits
; Kernel info:
; codeLenInByte = 1172
; NumSgprs: 20
; NumVgprs: 11
; ScratchSize: 0
; MemoryBound: 0
; FloatMode: 240
; IeeeMode: 1
; LDSByteSize: 480 bytes/workgroup (compile time only)
; SGPRBlocks: 2
; VGPRBlocks: 1
; NumSGPRsForWavesPerEU: 20
; NumVGPRsForWavesPerEU: 11
; Occupancy: 16
; WaveLimiterHint : 1
; COMPUTE_PGM_RSRC2:SCRATCH_EN: 0
; COMPUTE_PGM_RSRC2:USER_SGPR: 15
; COMPUTE_PGM_RSRC2:TRAP_HANDLER: 0
; COMPUTE_PGM_RSRC2:TGID_X_EN: 1
; COMPUTE_PGM_RSRC2:TGID_Y_EN: 0
; COMPUTE_PGM_RSRC2:TGID_Z_EN: 0
; COMPUTE_PGM_RSRC2:TIDIG_COMP_CNT: 0
	.section	.text._ZN9rocsparseL22gebsrmvn_mxn_16_kernelILj64ELj16ELj1EfEEvi20rocsparse_direction_NS_24const_host_device_scalarIT2_EEPKiS6_PKS3_iiS8_S4_PS3_21rocsparse_index_base_b,"axG",@progbits,_ZN9rocsparseL22gebsrmvn_mxn_16_kernelILj64ELj16ELj1EfEEvi20rocsparse_direction_NS_24const_host_device_scalarIT2_EEPKiS6_PKS3_iiS8_S4_PS3_21rocsparse_index_base_b,comdat
	.globl	_ZN9rocsparseL22gebsrmvn_mxn_16_kernelILj64ELj16ELj1EfEEvi20rocsparse_direction_NS_24const_host_device_scalarIT2_EEPKiS6_PKS3_iiS8_S4_PS3_21rocsparse_index_base_b ; -- Begin function _ZN9rocsparseL22gebsrmvn_mxn_16_kernelILj64ELj16ELj1EfEEvi20rocsparse_direction_NS_24const_host_device_scalarIT2_EEPKiS6_PKS3_iiS8_S4_PS3_21rocsparse_index_base_b
	.p2align	8
	.type	_ZN9rocsparseL22gebsrmvn_mxn_16_kernelILj64ELj16ELj1EfEEvi20rocsparse_direction_NS_24const_host_device_scalarIT2_EEPKiS6_PKS3_iiS8_S4_PS3_21rocsparse_index_base_b,@function
_ZN9rocsparseL22gebsrmvn_mxn_16_kernelILj64ELj16ELj1EfEEvi20rocsparse_direction_NS_24const_host_device_scalarIT2_EEPKiS6_PKS3_iiS8_S4_PS3_21rocsparse_index_base_b: ; @_ZN9rocsparseL22gebsrmvn_mxn_16_kernelILj64ELj16ELj1EfEEvi20rocsparse_direction_NS_24const_host_device_scalarIT2_EEPKiS6_PKS3_iiS8_S4_PS3_21rocsparse_index_base_b
; %bb.0:
	s_mov_b32 s8, s15
	s_clause 0x2
	s_load_b64 s[14:15], s[0:1], 0x48
	s_load_b64 s[10:11], s[0:1], 0x8
	s_load_b64 s[2:3], s[0:1], 0x38
	s_waitcnt lgkmcnt(0)
	s_bitcmp1_b32 s15, 0
	s_cselect_b32 s4, -1, 0
	s_delay_alu instid0(SALU_CYCLE_1)
	s_and_b32 vcc_lo, exec_lo, s4
	s_xor_b32 s4, s4, -1
	s_cbranch_vccnz .LBB26_2
; %bb.1:
	s_load_b32 s10, s[10:11], 0x0
.LBB26_2:
	s_and_not1_b32 vcc_lo, exec_lo, s4
	s_cbranch_vccnz .LBB26_4
; %bb.3:
	s_load_b32 s2, s[2:3], 0x0
.LBB26_4:
	s_waitcnt lgkmcnt(0)
	v_cmp_eq_f32_e64 s3, s10, 0
	v_cmp_eq_f32_e64 s4, s2, 1.0
	s_delay_alu instid0(VALU_DEP_1) | instskip(NEXT) | instid1(SALU_CYCLE_1)
	s_and_b32 s3, s3, s4
	s_and_b32 vcc_lo, exec_lo, s3
	s_cbranch_vccnz .LBB26_22
; %bb.5:
	s_load_b64 s[4:5], s[0:1], 0x10
	s_ashr_i32 s9, s8, 31
	s_delay_alu instid0(SALU_CYCLE_1)
	s_lshl_b64 s[6:7], s[8:9], 2
	s_waitcnt lgkmcnt(0)
	s_add_u32 s4, s4, s6
	s_addc_u32 s5, s5, s7
	s_load_b64 s[16:17], s[4:5], 0x0
	s_waitcnt lgkmcnt(0)
	s_cmp_lt_i32 s16, s17
	s_cbranch_scc1 .LBB26_7
; %bb.6:
	s_mov_b32 s4, 0
	s_load_b64 s[12:13], s[0:1], 0x40
	v_mov_b32_e32 v5, s4
	s_cbranch_execz .LBB26_8
	s_branch .LBB26_12
.LBB26_7:
                                        ; implicit-def: $sgpr4
	s_load_b64 s[12:13], s[0:1], 0x40
	v_mov_b32_e32 v5, s4
.LBB26_8:
	s_clause 0x1
	s_load_b128 s[4:7], s[0:1], 0x18
	s_load_b64 s[0:1], s[0:1], 0x30
	v_lshl_add_u32 v1, s16, 4, v0
	v_mov_b32_e32 v2, 0
	s_lshl_b32 s3, s14, 4
	v_lshrrev_b32_e32 v6, 4, v0
	s_sub_i32 s9, s16, s14
	v_subrev_nc_u32_e32 v1, s3, v1
	v_mov_b32_e32 v5, v2
	s_sub_i32 s3, s17, s14
	s_set_inst_prefetch_distance 0x1
	s_branch .LBB26_10
	.p2align	6
.LBB26_9:                               ;   in Loop: Header=BB26_10 Depth=1
	s_or_b32 exec_lo, exec_lo, s11
	v_add_nc_u32_e32 v1, 64, v1
	s_add_i32 s9, s9, 4
	s_delay_alu instid0(SALU_CYCLE_1)
	s_cmp_ge_i32 s9, s3
	s_cbranch_scc1 .LBB26_12
.LBB26_10:                              ; =>This Inner Loop Header: Depth=1
	v_add_nc_u32_e32 v3, s9, v6
	s_mov_b32 s11, exec_lo
	s_delay_alu instid0(VALU_DEP_1)
	v_cmpx_gt_i32_e64 s3, v3
	s_cbranch_execz .LBB26_9
; %bb.11:                               ;   in Loop: Header=BB26_10 Depth=1
	v_ashrrev_i32_e32 v4, 31, v3
	v_lshlrev_b64 v[7:8], 2, v[1:2]
	s_delay_alu instid0(VALU_DEP_2) | instskip(SKIP_1) | instid1(VALU_DEP_1)
	v_lshlrev_b64 v[3:4], 2, v[3:4]
	s_waitcnt lgkmcnt(0)
	v_add_co_u32 v3, vcc_lo, s4, v3
	s_delay_alu instid0(VALU_DEP_2) | instskip(NEXT) | instid1(VALU_DEP_4)
	v_add_co_ci_u32_e32 v4, vcc_lo, s5, v4, vcc_lo
	v_add_co_u32 v7, vcc_lo, s6, v7
	v_add_co_ci_u32_e32 v8, vcc_lo, s7, v8, vcc_lo
	global_load_b32 v3, v[3:4], off
	s_waitcnt vmcnt(0)
	v_subrev_nc_u32_e32 v3, s14, v3
	s_delay_alu instid0(VALU_DEP_1) | instskip(NEXT) | instid1(VALU_DEP_1)
	v_ashrrev_i32_e32 v4, 31, v3
	v_lshlrev_b64 v[3:4], 2, v[3:4]
	s_delay_alu instid0(VALU_DEP_1) | instskip(NEXT) | instid1(VALU_DEP_2)
	v_add_co_u32 v3, vcc_lo, s0, v3
	v_add_co_ci_u32_e32 v4, vcc_lo, s1, v4, vcc_lo
	global_load_b32 v7, v[7:8], off
	global_load_b32 v3, v[3:4], off
	s_waitcnt vmcnt(0)
	v_fmac_f32_e32 v5, v7, v3
	s_branch .LBB26_9
.LBB26_12:
	s_set_inst_prefetch_distance 0x2
	v_lshlrev_b32_e32 v1, 2, v0
	s_waitcnt lgkmcnt(0)
	s_mov_b32 s0, exec_lo
	ds_store_b32 v1, v5
	s_waitcnt lgkmcnt(0)
	s_barrier
	buffer_gl0_inv
	v_cmpx_gt_u32_e32 32, v0
	s_cbranch_execz .LBB26_14
; %bb.13:
	ds_load_2addr_b32 v[2:3], v1 offset1:32
	s_waitcnt lgkmcnt(0)
	v_add_f32_e32 v2, v3, v2
	ds_store_b32 v1, v2
.LBB26_14:
	s_or_b32 exec_lo, exec_lo, s0
	v_cmp_gt_u32_e32 vcc_lo, 16, v0
	s_waitcnt lgkmcnt(0)
	s_barrier
	buffer_gl0_inv
	s_and_saveexec_b32 s0, vcc_lo
	s_cbranch_execz .LBB26_16
; %bb.15:
	ds_load_2addr_b32 v[2:3], v1 offset1:16
	s_waitcnt lgkmcnt(0)
	v_add_f32_e32 v2, v3, v2
	ds_store_b32 v1, v2
.LBB26_16:
	s_or_b32 exec_lo, exec_lo, s0
	s_waitcnt lgkmcnt(0)
	s_barrier
	buffer_gl0_inv
	s_and_saveexec_b32 s0, vcc_lo
	s_cbranch_execz .LBB26_18
; %bb.17:
	ds_load_b32 v5, v1
.LBB26_18:
	s_or_b32 exec_lo, exec_lo, s0
	s_and_saveexec_b32 s0, vcc_lo
	s_cbranch_execz .LBB26_22
; %bb.19:
	v_cmp_eq_f32_e64 s0, s2, 0
	s_waitcnt lgkmcnt(0)
	v_mul_f32_e32 v2, s10, v5
	v_lshl_or_b32 v0, s8, 4, v0
	s_delay_alu instid0(VALU_DEP_3)
	s_and_b32 vcc_lo, exec_lo, s0
	s_mov_b32 s0, 0
	s_cbranch_vccz .LBB26_23
; %bb.20:
	v_mov_b32_e32 v1, 0
	s_delay_alu instid0(VALU_DEP_1) | instskip(NEXT) | instid1(VALU_DEP_1)
	v_lshlrev_b64 v[3:4], 2, v[0:1]
	v_add_co_u32 v3, vcc_lo, s12, v3
	s_delay_alu instid0(VALU_DEP_2)
	v_add_co_ci_u32_e32 v4, vcc_lo, s13, v4, vcc_lo
	global_store_b32 v[3:4], v2, off
	s_and_not1_b32 vcc_lo, exec_lo, s0
	s_cbranch_vccnz .LBB26_22
.LBB26_21:
	v_mov_b32_e32 v1, 0
	s_delay_alu instid0(VALU_DEP_1) | instskip(NEXT) | instid1(VALU_DEP_1)
	v_lshlrev_b64 v[0:1], 2, v[0:1]
	v_add_co_u32 v0, vcc_lo, s12, v0
	s_delay_alu instid0(VALU_DEP_2)
	v_add_co_ci_u32_e32 v1, vcc_lo, s13, v1, vcc_lo
	global_load_b32 v3, v[0:1], off
	s_waitcnt vmcnt(0)
	v_fmac_f32_e32 v2, s2, v3
	global_store_b32 v[0:1], v2, off
.LBB26_22:
	s_nop 0
	s_sendmsg sendmsg(MSG_DEALLOC_VGPRS)
	s_endpgm
.LBB26_23:
	s_branch .LBB26_21
	.section	.rodata,"a",@progbits
	.p2align	6, 0x0
	.amdhsa_kernel _ZN9rocsparseL22gebsrmvn_mxn_16_kernelILj64ELj16ELj1EfEEvi20rocsparse_direction_NS_24const_host_device_scalarIT2_EEPKiS6_PKS3_iiS8_S4_PS3_21rocsparse_index_base_b
		.amdhsa_group_segment_fixed_size 256
		.amdhsa_private_segment_fixed_size 0
		.amdhsa_kernarg_size 80
		.amdhsa_user_sgpr_count 15
		.amdhsa_user_sgpr_dispatch_ptr 0
		.amdhsa_user_sgpr_queue_ptr 0
		.amdhsa_user_sgpr_kernarg_segment_ptr 1
		.amdhsa_user_sgpr_dispatch_id 0
		.amdhsa_user_sgpr_private_segment_size 0
		.amdhsa_wavefront_size32 1
		.amdhsa_uses_dynamic_stack 0
		.amdhsa_enable_private_segment 0
		.amdhsa_system_sgpr_workgroup_id_x 1
		.amdhsa_system_sgpr_workgroup_id_y 0
		.amdhsa_system_sgpr_workgroup_id_z 0
		.amdhsa_system_sgpr_workgroup_info 0
		.amdhsa_system_vgpr_workitem_id 0
		.amdhsa_next_free_vgpr 9
		.amdhsa_next_free_sgpr 18
		.amdhsa_reserve_vcc 1
		.amdhsa_float_round_mode_32 0
		.amdhsa_float_round_mode_16_64 0
		.amdhsa_float_denorm_mode_32 3
		.amdhsa_float_denorm_mode_16_64 3
		.amdhsa_dx10_clamp 1
		.amdhsa_ieee_mode 1
		.amdhsa_fp16_overflow 0
		.amdhsa_workgroup_processor_mode 1
		.amdhsa_memory_ordered 1
		.amdhsa_forward_progress 0
		.amdhsa_shared_vgpr_count 0
		.amdhsa_exception_fp_ieee_invalid_op 0
		.amdhsa_exception_fp_denorm_src 0
		.amdhsa_exception_fp_ieee_div_zero 0
		.amdhsa_exception_fp_ieee_overflow 0
		.amdhsa_exception_fp_ieee_underflow 0
		.amdhsa_exception_fp_ieee_inexact 0
		.amdhsa_exception_int_div_zero 0
	.end_amdhsa_kernel
	.section	.text._ZN9rocsparseL22gebsrmvn_mxn_16_kernelILj64ELj16ELj1EfEEvi20rocsparse_direction_NS_24const_host_device_scalarIT2_EEPKiS6_PKS3_iiS8_S4_PS3_21rocsparse_index_base_b,"axG",@progbits,_ZN9rocsparseL22gebsrmvn_mxn_16_kernelILj64ELj16ELj1EfEEvi20rocsparse_direction_NS_24const_host_device_scalarIT2_EEPKiS6_PKS3_iiS8_S4_PS3_21rocsparse_index_base_b,comdat
.Lfunc_end26:
	.size	_ZN9rocsparseL22gebsrmvn_mxn_16_kernelILj64ELj16ELj1EfEEvi20rocsparse_direction_NS_24const_host_device_scalarIT2_EEPKiS6_PKS3_iiS8_S4_PS3_21rocsparse_index_base_b, .Lfunc_end26-_ZN9rocsparseL22gebsrmvn_mxn_16_kernelILj64ELj16ELj1EfEEvi20rocsparse_direction_NS_24const_host_device_scalarIT2_EEPKiS6_PKS3_iiS8_S4_PS3_21rocsparse_index_base_b
                                        ; -- End function
	.section	.AMDGPU.csdata,"",@progbits
; Kernel info:
; codeLenInByte = 788
; NumSgprs: 20
; NumVgprs: 9
; ScratchSize: 0
; MemoryBound: 0
; FloatMode: 240
; IeeeMode: 1
; LDSByteSize: 256 bytes/workgroup (compile time only)
; SGPRBlocks: 2
; VGPRBlocks: 1
; NumSGPRsForWavesPerEU: 20
; NumVGPRsForWavesPerEU: 9
; Occupancy: 16
; WaveLimiterHint : 1
; COMPUTE_PGM_RSRC2:SCRATCH_EN: 0
; COMPUTE_PGM_RSRC2:USER_SGPR: 15
; COMPUTE_PGM_RSRC2:TRAP_HANDLER: 0
; COMPUTE_PGM_RSRC2:TGID_X_EN: 1
; COMPUTE_PGM_RSRC2:TGID_Y_EN: 0
; COMPUTE_PGM_RSRC2:TGID_Z_EN: 0
; COMPUTE_PGM_RSRC2:TIDIG_COMP_CNT: 0
	.section	.text._ZN9rocsparseL22gebsrmvn_mxn_16_kernelILj64ELj16ELj2EfEEvi20rocsparse_direction_NS_24const_host_device_scalarIT2_EEPKiS6_PKS3_iiS8_S4_PS3_21rocsparse_index_base_b,"axG",@progbits,_ZN9rocsparseL22gebsrmvn_mxn_16_kernelILj64ELj16ELj2EfEEvi20rocsparse_direction_NS_24const_host_device_scalarIT2_EEPKiS6_PKS3_iiS8_S4_PS3_21rocsparse_index_base_b,comdat
	.globl	_ZN9rocsparseL22gebsrmvn_mxn_16_kernelILj64ELj16ELj2EfEEvi20rocsparse_direction_NS_24const_host_device_scalarIT2_EEPKiS6_PKS3_iiS8_S4_PS3_21rocsparse_index_base_b ; -- Begin function _ZN9rocsparseL22gebsrmvn_mxn_16_kernelILj64ELj16ELj2EfEEvi20rocsparse_direction_NS_24const_host_device_scalarIT2_EEPKiS6_PKS3_iiS8_S4_PS3_21rocsparse_index_base_b
	.p2align	8
	.type	_ZN9rocsparseL22gebsrmvn_mxn_16_kernelILj64ELj16ELj2EfEEvi20rocsparse_direction_NS_24const_host_device_scalarIT2_EEPKiS6_PKS3_iiS8_S4_PS3_21rocsparse_index_base_b,@function
_ZN9rocsparseL22gebsrmvn_mxn_16_kernelILj64ELj16ELj2EfEEvi20rocsparse_direction_NS_24const_host_device_scalarIT2_EEPKiS6_PKS3_iiS8_S4_PS3_21rocsparse_index_base_b: ; @_ZN9rocsparseL22gebsrmvn_mxn_16_kernelILj64ELj16ELj2EfEEvi20rocsparse_direction_NS_24const_host_device_scalarIT2_EEPKiS6_PKS3_iiS8_S4_PS3_21rocsparse_index_base_b
; %bb.0:
	s_mov_b32 s8, s15
	s_clause 0x2
	s_load_b64 s[14:15], s[0:1], 0x48
	s_load_b64 s[10:11], s[0:1], 0x8
	;; [unrolled: 1-line block ×3, first 2 shown]
	s_waitcnt lgkmcnt(0)
	s_bitcmp1_b32 s15, 0
	s_cselect_b32 s4, -1, 0
	s_delay_alu instid0(SALU_CYCLE_1)
	s_and_b32 vcc_lo, exec_lo, s4
	s_xor_b32 s4, s4, -1
	s_cbranch_vccnz .LBB27_2
; %bb.1:
	s_load_b32 s10, s[10:11], 0x0
.LBB27_2:
	s_and_not1_b32 vcc_lo, exec_lo, s4
	s_cbranch_vccnz .LBB27_4
; %bb.3:
	s_load_b32 s2, s[2:3], 0x0
.LBB27_4:
	s_waitcnt lgkmcnt(0)
	v_cmp_eq_f32_e64 s3, s10, 0
	v_cmp_eq_f32_e64 s4, s2, 1.0
	s_delay_alu instid0(VALU_DEP_1) | instskip(NEXT) | instid1(SALU_CYCLE_1)
	s_and_b32 s3, s3, s4
	s_and_b32 vcc_lo, exec_lo, s3
	s_cbranch_vccnz .LBB27_28
; %bb.5:
	s_clause 0x2
	s_load_b64 s[12:13], s[0:1], 0x40
	s_load_b32 s3, s[0:1], 0x4
	s_load_b64 s[4:5], s[0:1], 0x10
	v_dual_mov_b32 v5, 0 :: v_dual_and_b32 v6, 1, v0
	s_waitcnt lgkmcnt(0)
	s_cmp_eq_u32 s3, 1
	s_cselect_b32 vcc_lo, -1, 0
	s_cmp_lg_u32 s3, 1
	s_cselect_b32 s3, -1, 0
	s_ashr_i32 s9, s8, 31
	s_delay_alu instid0(SALU_CYCLE_1) | instskip(NEXT) | instid1(SALU_CYCLE_1)
	s_lshl_b64 s[6:7], s[8:9], 2
	s_add_u32 s4, s4, s6
	s_addc_u32 s5, s5, s7
	s_load_b64 s[16:17], s[4:5], 0x0
	s_waitcnt lgkmcnt(0)
	s_cmp_ge_i32 s16, s17
	s_cbranch_scc1 .LBB27_10
; %bb.6:
	s_clause 0x1
	s_load_b128 s[4:7], s[0:1], 0x18
	s_load_b64 s[0:1], s[0:1], 0x30
	v_bfe_u32 v1, v0, 4, 1
	v_lshl_add_u32 v3, s16, 5, v0
	v_mov_b32_e32 v2, 0
	s_lshl_b32 s9, s14, 5
	v_lshrrev_b32_e32 v8, 5, v0
	v_cndmask_b32_e32 v7, v6, v1, vcc_lo
	v_subrev_nc_u32_e32 v1, s9, v3
	v_mov_b32_e32 v5, v2
	s_sub_i32 s9, s17, s14
	s_sub_i32 s11, s16, s14
	s_set_inst_prefetch_distance 0x1
	s_branch .LBB27_8
	.p2align	6
.LBB27_7:                               ;   in Loop: Header=BB27_8 Depth=1
	s_or_b32 exec_lo, exec_lo, s15
	v_add_nc_u32_e32 v1, 64, v1
	s_add_i32 s11, s11, 2
	s_delay_alu instid0(SALU_CYCLE_1)
	s_cmp_ge_i32 s11, s9
	s_cbranch_scc1 .LBB27_10
.LBB27_8:                               ; =>This Inner Loop Header: Depth=1
	v_add_nc_u32_e32 v3, s11, v8
	s_mov_b32 s15, exec_lo
	s_delay_alu instid0(VALU_DEP_1)
	v_cmpx_gt_i32_e64 s9, v3
	s_cbranch_execz .LBB27_7
; %bb.9:                                ;   in Loop: Header=BB27_8 Depth=1
	v_ashrrev_i32_e32 v4, 31, v3
	v_lshlrev_b64 v[9:10], 2, v[1:2]
	s_delay_alu instid0(VALU_DEP_2) | instskip(SKIP_1) | instid1(VALU_DEP_1)
	v_lshlrev_b64 v[3:4], 2, v[3:4]
	s_waitcnt lgkmcnt(0)
	v_add_co_u32 v3, vcc_lo, s4, v3
	s_delay_alu instid0(VALU_DEP_2) | instskip(NEXT) | instid1(VALU_DEP_4)
	v_add_co_ci_u32_e32 v4, vcc_lo, s5, v4, vcc_lo
	v_add_co_u32 v9, vcc_lo, s6, v9
	v_add_co_ci_u32_e32 v10, vcc_lo, s7, v10, vcc_lo
	global_load_b32 v3, v[3:4], off
	s_waitcnt vmcnt(0)
	v_subrev_nc_u32_e32 v3, s14, v3
	s_delay_alu instid0(VALU_DEP_1) | instskip(NEXT) | instid1(VALU_DEP_1)
	v_lshl_or_b32 v3, v3, 1, v7
	v_ashrrev_i32_e32 v4, 31, v3
	s_delay_alu instid0(VALU_DEP_1) | instskip(NEXT) | instid1(VALU_DEP_1)
	v_lshlrev_b64 v[3:4], 2, v[3:4]
	v_add_co_u32 v3, vcc_lo, s0, v3
	s_delay_alu instid0(VALU_DEP_2)
	v_add_co_ci_u32_e32 v4, vcc_lo, s1, v4, vcc_lo
	global_load_b32 v9, v[9:10], off
	global_load_b32 v3, v[3:4], off
	s_waitcnt vmcnt(0)
	v_fmac_f32_e32 v5, v9, v3
	s_branch .LBB27_7
.LBB27_10:
	s_set_inst_prefetch_distance 0x2
	v_lshlrev_b32_e32 v1, 2, v0
	s_waitcnt lgkmcnt(0)
	s_mov_b32 s0, exec_lo
	ds_store_b32 v1, v5
	s_waitcnt lgkmcnt(0)
	s_barrier
	buffer_gl0_inv
	v_cmpx_gt_u32_e32 32, v0
	s_cbranch_execz .LBB27_12
; %bb.11:
	ds_load_2addr_b32 v[2:3], v1 offset1:32
	s_waitcnt lgkmcnt(0)
	v_add_f32_e32 v2, v3, v2
	ds_store_b32 v1, v2
.LBB27_12:
	s_or_b32 exec_lo, exec_lo, s0
	s_delay_alu instid0(SALU_CYCLE_1)
	s_and_b32 vcc_lo, exec_lo, s3
	s_waitcnt lgkmcnt(0)
	s_barrier
	buffer_gl0_inv
	s_cbranch_vccz .LBB27_18
; %bb.13:
	s_mov_b32 s0, exec_lo
	v_cmpx_eq_u32_e32 0, v6
	s_cbranch_execz .LBB27_15
; %bb.14:
	ds_load_2addr_b32 v[2:3], v1 offset1:1
	s_waitcnt lgkmcnt(0)
	v_add_f32_e32 v2, v3, v2
	ds_store_b32 v1, v2
.LBB27_15:
	s_or_b32 exec_lo, exec_lo, s0
	v_mov_b32_e32 v2, v5
	s_mov_b32 s0, exec_lo
	s_waitcnt lgkmcnt(0)
	s_barrier
	buffer_gl0_inv
	v_cmpx_gt_u32_e32 16, v0
	s_cbranch_execz .LBB27_17
; %bb.16:
	v_lshl_add_u32 v2, v0, 2, v1
	ds_load_b32 v2, v2
.LBB27_17:
	s_or_b32 exec_lo, exec_lo, s0
	s_branch .LBB27_24
.LBB27_18:
                                        ; implicit-def: $vgpr2
	s_cbranch_execz .LBB27_24
; %bb.19:
	s_mov_b32 s0, exec_lo
	v_cmpx_lt_u32_e32 15, v0
	s_xor_b32 s0, exec_lo, s0
	s_cbranch_execz .LBB27_21
; %bb.20:
	s_waitcnt lgkmcnt(0)
	buffer_gl0_inv
                                        ; implicit-def: $vgpr1
.LBB27_21:
	s_and_not1_saveexec_b32 s0, s0
	s_cbranch_execz .LBB27_23
; %bb.22:
	s_waitcnt lgkmcnt(0)
	ds_load_2addr_b32 v[2:3], v1 offset1:16
	s_waitcnt lgkmcnt(0)
	v_add_f32_e32 v2, v3, v2
	ds_store_b32 v1, v2
	s_waitcnt lgkmcnt(0)
	buffer_gl0_inv
	ds_load_b32 v5, v1
.LBB27_23:
	s_or_b32 exec_lo, exec_lo, s0
	s_waitcnt lgkmcnt(0)
	v_mov_b32_e32 v2, v5
.LBB27_24:
	s_mov_b32 s0, exec_lo
	v_cmpx_gt_u32_e32 16, v0
	s_cbranch_execz .LBB27_28
; %bb.25:
	v_cmp_eq_f32_e64 s0, s2, 0
	s_waitcnt lgkmcnt(0)
	v_mul_f32_e32 v2, s10, v2
	v_lshl_or_b32 v0, s8, 4, v0
	s_delay_alu instid0(VALU_DEP_3)
	s_and_b32 vcc_lo, exec_lo, s0
	s_mov_b32 s0, 0
	s_cbranch_vccz .LBB27_29
; %bb.26:
	v_mov_b32_e32 v1, 0
	s_delay_alu instid0(VALU_DEP_1) | instskip(NEXT) | instid1(VALU_DEP_1)
	v_lshlrev_b64 v[3:4], 2, v[0:1]
	v_add_co_u32 v3, vcc_lo, s12, v3
	s_delay_alu instid0(VALU_DEP_2)
	v_add_co_ci_u32_e32 v4, vcc_lo, s13, v4, vcc_lo
	global_store_b32 v[3:4], v2, off
	s_and_not1_b32 vcc_lo, exec_lo, s0
	s_cbranch_vccnz .LBB27_28
.LBB27_27:
	v_mov_b32_e32 v1, 0
	s_delay_alu instid0(VALU_DEP_1) | instskip(NEXT) | instid1(VALU_DEP_1)
	v_lshlrev_b64 v[0:1], 2, v[0:1]
	v_add_co_u32 v0, vcc_lo, s12, v0
	s_delay_alu instid0(VALU_DEP_2)
	v_add_co_ci_u32_e32 v1, vcc_lo, s13, v1, vcc_lo
	global_load_b32 v3, v[0:1], off
	s_waitcnt vmcnt(0)
	v_fmac_f32_e32 v2, s2, v3
	global_store_b32 v[0:1], v2, off
.LBB27_28:
	s_nop 0
	s_sendmsg sendmsg(MSG_DEALLOC_VGPRS)
	s_endpgm
.LBB27_29:
	s_branch .LBB27_27
	.section	.rodata,"a",@progbits
	.p2align	6, 0x0
	.amdhsa_kernel _ZN9rocsparseL22gebsrmvn_mxn_16_kernelILj64ELj16ELj2EfEEvi20rocsparse_direction_NS_24const_host_device_scalarIT2_EEPKiS6_PKS3_iiS8_S4_PS3_21rocsparse_index_base_b
		.amdhsa_group_segment_fixed_size 256
		.amdhsa_private_segment_fixed_size 0
		.amdhsa_kernarg_size 80
		.amdhsa_user_sgpr_count 15
		.amdhsa_user_sgpr_dispatch_ptr 0
		.amdhsa_user_sgpr_queue_ptr 0
		.amdhsa_user_sgpr_kernarg_segment_ptr 1
		.amdhsa_user_sgpr_dispatch_id 0
		.amdhsa_user_sgpr_private_segment_size 0
		.amdhsa_wavefront_size32 1
		.amdhsa_uses_dynamic_stack 0
		.amdhsa_enable_private_segment 0
		.amdhsa_system_sgpr_workgroup_id_x 1
		.amdhsa_system_sgpr_workgroup_id_y 0
		.amdhsa_system_sgpr_workgroup_id_z 0
		.amdhsa_system_sgpr_workgroup_info 0
		.amdhsa_system_vgpr_workitem_id 0
		.amdhsa_next_free_vgpr 11
		.amdhsa_next_free_sgpr 18
		.amdhsa_reserve_vcc 1
		.amdhsa_float_round_mode_32 0
		.amdhsa_float_round_mode_16_64 0
		.amdhsa_float_denorm_mode_32 3
		.amdhsa_float_denorm_mode_16_64 3
		.amdhsa_dx10_clamp 1
		.amdhsa_ieee_mode 1
		.amdhsa_fp16_overflow 0
		.amdhsa_workgroup_processor_mode 1
		.amdhsa_memory_ordered 1
		.amdhsa_forward_progress 0
		.amdhsa_shared_vgpr_count 0
		.amdhsa_exception_fp_ieee_invalid_op 0
		.amdhsa_exception_fp_denorm_src 0
		.amdhsa_exception_fp_ieee_div_zero 0
		.amdhsa_exception_fp_ieee_overflow 0
		.amdhsa_exception_fp_ieee_underflow 0
		.amdhsa_exception_fp_ieee_inexact 0
		.amdhsa_exception_int_div_zero 0
	.end_amdhsa_kernel
	.section	.text._ZN9rocsparseL22gebsrmvn_mxn_16_kernelILj64ELj16ELj2EfEEvi20rocsparse_direction_NS_24const_host_device_scalarIT2_EEPKiS6_PKS3_iiS8_S4_PS3_21rocsparse_index_base_b,"axG",@progbits,_ZN9rocsparseL22gebsrmvn_mxn_16_kernelILj64ELj16ELj2EfEEvi20rocsparse_direction_NS_24const_host_device_scalarIT2_EEPKiS6_PKS3_iiS8_S4_PS3_21rocsparse_index_base_b,comdat
.Lfunc_end27:
	.size	_ZN9rocsparseL22gebsrmvn_mxn_16_kernelILj64ELj16ELj2EfEEvi20rocsparse_direction_NS_24const_host_device_scalarIT2_EEPKiS6_PKS3_iiS8_S4_PS3_21rocsparse_index_base_b, .Lfunc_end27-_ZN9rocsparseL22gebsrmvn_mxn_16_kernelILj64ELj16ELj2EfEEvi20rocsparse_direction_NS_24const_host_device_scalarIT2_EEPKiS6_PKS3_iiS8_S4_PS3_21rocsparse_index_base_b
                                        ; -- End function
	.section	.AMDGPU.csdata,"",@progbits
; Kernel info:
; codeLenInByte = 956
; NumSgprs: 20
; NumVgprs: 11
; ScratchSize: 0
; MemoryBound: 0
; FloatMode: 240
; IeeeMode: 1
; LDSByteSize: 256 bytes/workgroup (compile time only)
; SGPRBlocks: 2
; VGPRBlocks: 1
; NumSGPRsForWavesPerEU: 20
; NumVGPRsForWavesPerEU: 11
; Occupancy: 16
; WaveLimiterHint : 1
; COMPUTE_PGM_RSRC2:SCRATCH_EN: 0
; COMPUTE_PGM_RSRC2:USER_SGPR: 15
; COMPUTE_PGM_RSRC2:TRAP_HANDLER: 0
; COMPUTE_PGM_RSRC2:TGID_X_EN: 1
; COMPUTE_PGM_RSRC2:TGID_Y_EN: 0
; COMPUTE_PGM_RSRC2:TGID_Z_EN: 0
; COMPUTE_PGM_RSRC2:TIDIG_COMP_CNT: 0
	.section	.text._ZN9rocsparseL22gebsrmvn_mxn_16_kernelILj48ELj16ELj3EfEEvi20rocsparse_direction_NS_24const_host_device_scalarIT2_EEPKiS6_PKS3_iiS8_S4_PS3_21rocsparse_index_base_b,"axG",@progbits,_ZN9rocsparseL22gebsrmvn_mxn_16_kernelILj48ELj16ELj3EfEEvi20rocsparse_direction_NS_24const_host_device_scalarIT2_EEPKiS6_PKS3_iiS8_S4_PS3_21rocsparse_index_base_b,comdat
	.globl	_ZN9rocsparseL22gebsrmvn_mxn_16_kernelILj48ELj16ELj3EfEEvi20rocsparse_direction_NS_24const_host_device_scalarIT2_EEPKiS6_PKS3_iiS8_S4_PS3_21rocsparse_index_base_b ; -- Begin function _ZN9rocsparseL22gebsrmvn_mxn_16_kernelILj48ELj16ELj3EfEEvi20rocsparse_direction_NS_24const_host_device_scalarIT2_EEPKiS6_PKS3_iiS8_S4_PS3_21rocsparse_index_base_b
	.p2align	8
	.type	_ZN9rocsparseL22gebsrmvn_mxn_16_kernelILj48ELj16ELj3EfEEvi20rocsparse_direction_NS_24const_host_device_scalarIT2_EEPKiS6_PKS3_iiS8_S4_PS3_21rocsparse_index_base_b,@function
_ZN9rocsparseL22gebsrmvn_mxn_16_kernelILj48ELj16ELj3EfEEvi20rocsparse_direction_NS_24const_host_device_scalarIT2_EEPKiS6_PKS3_iiS8_S4_PS3_21rocsparse_index_base_b: ; @_ZN9rocsparseL22gebsrmvn_mxn_16_kernelILj48ELj16ELj3EfEEvi20rocsparse_direction_NS_24const_host_device_scalarIT2_EEPKiS6_PKS3_iiS8_S4_PS3_21rocsparse_index_base_b
; %bb.0:
	s_mov_b32 s8, s15
	s_clause 0x2
	s_load_b64 s[14:15], s[0:1], 0x48
	s_load_b64 s[10:11], s[0:1], 0x8
	;; [unrolled: 1-line block ×3, first 2 shown]
	s_waitcnt lgkmcnt(0)
	s_bitcmp1_b32 s15, 0
	s_cselect_b32 s4, -1, 0
	s_delay_alu instid0(SALU_CYCLE_1)
	s_and_b32 vcc_lo, exec_lo, s4
	s_xor_b32 s4, s4, -1
	s_cbranch_vccnz .LBB28_2
; %bb.1:
	s_load_b32 s10, s[10:11], 0x0
.LBB28_2:
	s_and_not1_b32 vcc_lo, exec_lo, s4
	s_cbranch_vccnz .LBB28_4
; %bb.3:
	s_load_b32 s2, s[2:3], 0x0
.LBB28_4:
	s_waitcnt lgkmcnt(0)
	v_cmp_eq_f32_e64 s3, s10, 0
	v_cmp_eq_f32_e64 s4, s2, 1.0
	s_delay_alu instid0(VALU_DEP_1) | instskip(NEXT) | instid1(SALU_CYCLE_1)
	s_and_b32 s3, s3, s4
	s_and_b32 vcc_lo, exec_lo, s3
	s_cbranch_vccnz .LBB28_30
; %bb.5:
	s_clause 0x2
	s_load_b64 s[12:13], s[0:1], 0x40
	s_load_b32 s3, s[0:1], 0x4
	s_load_b64 s[4:5], s[0:1], 0x10
	v_mul_u32_u24_e32 v1, 0x5556, v0
	v_mov_b32_e32 v6, 0
	s_delay_alu instid0(VALU_DEP_2) | instskip(NEXT) | instid1(VALU_DEP_1)
	v_lshrrev_b32_e32 v1, 16, v1
	v_mul_lo_u16 v1, v1, 3
	s_delay_alu instid0(VALU_DEP_1)
	v_sub_nc_u16 v7, v0, v1
	s_waitcnt lgkmcnt(0)
	s_cmp_eq_u32 s3, 1
	s_cselect_b32 vcc_lo, -1, 0
	s_cmp_lg_u32 s3, 1
	s_cselect_b32 s3, -1, 0
	s_ashr_i32 s9, s8, 31
	s_delay_alu instid0(SALU_CYCLE_1) | instskip(NEXT) | instid1(SALU_CYCLE_1)
	s_lshl_b64 s[6:7], s[8:9], 2
	s_add_u32 s4, s4, s6
	s_addc_u32 s5, s5, s7
	s_load_b64 s[16:17], s[4:5], 0x0
	s_waitcnt lgkmcnt(0)
	s_cmp_ge_i32 s16, s17
	s_cbranch_scc1 .LBB28_10
; %bb.6:
	v_lshrrev_b32_e32 v3, 4, v0
	s_clause 0x1
	s_load_b128 s[4:7], s[0:1], 0x18
	s_load_b64 s[0:1], s[0:1], 0x30
	v_and_b32_e32 v5, 0xffff, v0
	s_mul_i32 s9, s14, 48
	s_sub_i32 s11, s16, s14
	v_mul_lo_u16 v1, 0x56, v3
	s_delay_alu instid0(VALU_DEP_1) | instskip(NEXT) | instid1(VALU_DEP_1)
	v_lshrrev_b16 v1, 8, v1
	v_mul_lo_u16 v4, v1, 3
	v_mad_u64_u32 v[1:2], null, s16, 48, v[0:1]
	v_mov_b32_e32 v2, 0
	v_mul_u32_u24_e32 v5, 0x556, v5
	s_delay_alu instid0(VALU_DEP_4) | instskip(SKIP_1) | instid1(VALU_DEP_4)
	v_sub_nc_u16 v3, v3, v4
	v_and_b32_e32 v4, 0xffff, v7
	v_mov_b32_e32 v6, v2
	v_subrev_nc_u32_e32 v1, s9, v1
	s_delay_alu instid0(VALU_DEP_4) | instskip(SKIP_2) | instid1(VALU_DEP_2)
	v_and_b32_e32 v3, 0xff, v3
	v_lshrrev_b32_e32 v8, 16, v5
	s_sub_i32 s9, s17, s14
	v_cndmask_b32_e32 v3, v4, v3, vcc_lo
	s_set_inst_prefetch_distance 0x1
	s_branch .LBB28_8
	.p2align	6
.LBB28_7:                               ;   in Loop: Header=BB28_8 Depth=1
	s_or_b32 exec_lo, exec_lo, s15
	v_add_nc_u32_e32 v1, 48, v1
	s_add_i32 s11, s11, 1
	s_delay_alu instid0(SALU_CYCLE_1)
	s_cmp_ge_i32 s11, s9
	s_cbranch_scc1 .LBB28_10
.LBB28_8:                               ; =>This Inner Loop Header: Depth=1
	v_add_nc_u32_e32 v4, s11, v8
	s_mov_b32 s15, exec_lo
	s_delay_alu instid0(VALU_DEP_1)
	v_cmpx_gt_i32_e64 s9, v4
	s_cbranch_execz .LBB28_7
; %bb.9:                                ;   in Loop: Header=BB28_8 Depth=1
	v_ashrrev_i32_e32 v5, 31, v4
	s_delay_alu instid0(VALU_DEP_1) | instskip(SKIP_1) | instid1(VALU_DEP_1)
	v_lshlrev_b64 v[4:5], 2, v[4:5]
	s_waitcnt lgkmcnt(0)
	v_add_co_u32 v4, vcc_lo, s4, v4
	s_delay_alu instid0(VALU_DEP_2) | instskip(SKIP_3) | instid1(VALU_DEP_1)
	v_add_co_ci_u32_e32 v5, vcc_lo, s5, v5, vcc_lo
	global_load_b32 v4, v[4:5], off
	s_waitcnt vmcnt(0)
	v_subrev_nc_u32_e32 v9, s14, v4
	v_mad_u64_u32 v[4:5], null, v9, 3, v[3:4]
	v_lshlrev_b64 v[9:10], 2, v[1:2]
	s_delay_alu instid0(VALU_DEP_1) | instskip(NEXT) | instid1(VALU_DEP_3)
	v_add_co_u32 v9, vcc_lo, s6, v9
	v_ashrrev_i32_e32 v5, 31, v4
	s_delay_alu instid0(VALU_DEP_3) | instskip(NEXT) | instid1(VALU_DEP_2)
	v_add_co_ci_u32_e32 v10, vcc_lo, s7, v10, vcc_lo
	v_lshlrev_b64 v[4:5], 2, v[4:5]
	s_delay_alu instid0(VALU_DEP_1) | instskip(NEXT) | instid1(VALU_DEP_2)
	v_add_co_u32 v4, vcc_lo, s0, v4
	v_add_co_ci_u32_e32 v5, vcc_lo, s1, v5, vcc_lo
	global_load_b32 v9, v[9:10], off
	global_load_b32 v4, v[4:5], off
	s_waitcnt vmcnt(0)
	v_fmac_f32_e32 v6, v9, v4
	s_branch .LBB28_7
.LBB28_10:
	s_set_inst_prefetch_distance 0x2
	v_lshlrev_b32_e32 v1, 2, v0
	s_and_b32 vcc_lo, exec_lo, s3
	ds_store_b32 v1, v6
	s_waitcnt lgkmcnt(0)
	s_barrier
	buffer_gl0_inv
	s_cbranch_vccz .LBB28_18
; %bb.11:
	v_cmp_eq_u16_e32 vcc_lo, 0, v7
	s_and_saveexec_b32 s0, vcc_lo
	s_cbranch_execz .LBB28_13
; %bb.12:
	ds_load_2addr_b32 v[2:3], v1 offset1:2
	s_waitcnt lgkmcnt(0)
	v_add_f32_e32 v2, v3, v2
	ds_store_b32 v1, v2
.LBB28_13:
	s_or_b32 exec_lo, exec_lo, s0
	s_waitcnt lgkmcnt(0)
	s_barrier
	buffer_gl0_inv
	s_and_saveexec_b32 s0, vcc_lo
	s_cbranch_execz .LBB28_15
; %bb.14:
	ds_load_2addr_b32 v[2:3], v1 offset1:1
	s_waitcnt lgkmcnt(0)
	v_add_f32_e32 v2, v3, v2
	ds_store_b32 v1, v2
.LBB28_15:
	s_or_b32 exec_lo, exec_lo, s0
	v_mov_b32_e32 v2, v6
	s_mov_b32 s0, exec_lo
	s_waitcnt lgkmcnt(0)
	s_barrier
	buffer_gl0_inv
	v_cmpx_gt_u32_e32 16, v0
	s_cbranch_execz .LBB28_17
; %bb.16:
	v_lshl_add_u32 v2, v0, 3, v1
	ds_load_b32 v2, v2
.LBB28_17:
	s_or_b32 exec_lo, exec_lo, s0
	v_cmp_gt_u32_e64 s0, 16, v0
	s_branch .LBB28_26
.LBB28_18:
                                        ; implicit-def: $vgpr2
	v_cmp_gt_u32_e64 s0, 16, v0
	s_cbranch_execz .LBB28_26
; %bb.19:
	v_cmp_lt_u32_e32 vcc_lo, 15, v0
	s_delay_alu instid0(VALU_DEP_2)
	s_and_saveexec_b32 s1, s0
	s_cbranch_execz .LBB28_21
; %bb.20:
	s_waitcnt lgkmcnt(0)
	ds_load_2addr_b32 v[2:3], v1 offset1:32
	s_waitcnt lgkmcnt(0)
	v_add_f32_e32 v2, v3, v2
	ds_store_b32 v1, v2
.LBB28_21:
	s_or_b32 exec_lo, exec_lo, s1
	s_waitcnt lgkmcnt(0)
	s_barrier
	buffer_gl0_inv
	s_and_saveexec_b32 s0, vcc_lo
	s_delay_alu instid0(SALU_CYCLE_1)
	s_xor_b32 s0, exec_lo, s0
	s_cbranch_execz .LBB28_23
; %bb.22:
	buffer_gl0_inv
                                        ; implicit-def: $vgpr1
.LBB28_23:
	s_and_not1_saveexec_b32 s0, s0
	s_cbranch_execz .LBB28_25
; %bb.24:
	ds_load_2addr_b32 v[2:3], v1 offset1:16
	s_waitcnt lgkmcnt(0)
	v_add_f32_e32 v2, v3, v2
	ds_store_b32 v1, v2
	s_waitcnt lgkmcnt(0)
	buffer_gl0_inv
	ds_load_b32 v6, v1
.LBB28_25:
	s_or_b32 exec_lo, exec_lo, s0
	s_waitcnt lgkmcnt(0)
	v_mov_b32_e32 v2, v6
.LBB28_26:
	s_mov_b32 s0, exec_lo
	v_cmpx_gt_u32_e32 16, v0
	s_cbranch_execz .LBB28_30
; %bb.27:
	v_cmp_eq_f32_e64 s0, s2, 0
	s_waitcnt lgkmcnt(0)
	v_mul_f32_e32 v2, s10, v2
	v_lshl_or_b32 v0, s8, 4, v0
	s_delay_alu instid0(VALU_DEP_3)
	s_and_b32 vcc_lo, exec_lo, s0
	s_mov_b32 s0, 0
	s_cbranch_vccz .LBB28_31
; %bb.28:
	v_mov_b32_e32 v1, 0
	s_delay_alu instid0(VALU_DEP_1) | instskip(NEXT) | instid1(VALU_DEP_1)
	v_lshlrev_b64 v[3:4], 2, v[0:1]
	v_add_co_u32 v3, vcc_lo, s12, v3
	s_delay_alu instid0(VALU_DEP_2)
	v_add_co_ci_u32_e32 v4, vcc_lo, s13, v4, vcc_lo
	global_store_b32 v[3:4], v2, off
	s_and_not1_b32 vcc_lo, exec_lo, s0
	s_cbranch_vccnz .LBB28_30
.LBB28_29:
	v_mov_b32_e32 v1, 0
	s_delay_alu instid0(VALU_DEP_1) | instskip(NEXT) | instid1(VALU_DEP_1)
	v_lshlrev_b64 v[0:1], 2, v[0:1]
	v_add_co_u32 v0, vcc_lo, s12, v0
	s_delay_alu instid0(VALU_DEP_2)
	v_add_co_ci_u32_e32 v1, vcc_lo, s13, v1, vcc_lo
	global_load_b32 v3, v[0:1], off
	s_waitcnt vmcnt(0)
	v_fmac_f32_e32 v2, s2, v3
	global_store_b32 v[0:1], v2, off
.LBB28_30:
	s_nop 0
	s_sendmsg sendmsg(MSG_DEALLOC_VGPRS)
	s_endpgm
.LBB28_31:
	s_branch .LBB28_29
	.section	.rodata,"a",@progbits
	.p2align	6, 0x0
	.amdhsa_kernel _ZN9rocsparseL22gebsrmvn_mxn_16_kernelILj48ELj16ELj3EfEEvi20rocsparse_direction_NS_24const_host_device_scalarIT2_EEPKiS6_PKS3_iiS8_S4_PS3_21rocsparse_index_base_b
		.amdhsa_group_segment_fixed_size 192
		.amdhsa_private_segment_fixed_size 0
		.amdhsa_kernarg_size 80
		.amdhsa_user_sgpr_count 15
		.amdhsa_user_sgpr_dispatch_ptr 0
		.amdhsa_user_sgpr_queue_ptr 0
		.amdhsa_user_sgpr_kernarg_segment_ptr 1
		.amdhsa_user_sgpr_dispatch_id 0
		.amdhsa_user_sgpr_private_segment_size 0
		.amdhsa_wavefront_size32 1
		.amdhsa_uses_dynamic_stack 0
		.amdhsa_enable_private_segment 0
		.amdhsa_system_sgpr_workgroup_id_x 1
		.amdhsa_system_sgpr_workgroup_id_y 0
		.amdhsa_system_sgpr_workgroup_id_z 0
		.amdhsa_system_sgpr_workgroup_info 0
		.amdhsa_system_vgpr_workitem_id 0
		.amdhsa_next_free_vgpr 11
		.amdhsa_next_free_sgpr 18
		.amdhsa_reserve_vcc 1
		.amdhsa_float_round_mode_32 0
		.amdhsa_float_round_mode_16_64 0
		.amdhsa_float_denorm_mode_32 3
		.amdhsa_float_denorm_mode_16_64 3
		.amdhsa_dx10_clamp 1
		.amdhsa_ieee_mode 1
		.amdhsa_fp16_overflow 0
		.amdhsa_workgroup_processor_mode 1
		.amdhsa_memory_ordered 1
		.amdhsa_forward_progress 0
		.amdhsa_shared_vgpr_count 0
		.amdhsa_exception_fp_ieee_invalid_op 0
		.amdhsa_exception_fp_denorm_src 0
		.amdhsa_exception_fp_ieee_div_zero 0
		.amdhsa_exception_fp_ieee_overflow 0
		.amdhsa_exception_fp_ieee_underflow 0
		.amdhsa_exception_fp_ieee_inexact 0
		.amdhsa_exception_int_div_zero 0
	.end_amdhsa_kernel
	.section	.text._ZN9rocsparseL22gebsrmvn_mxn_16_kernelILj48ELj16ELj3EfEEvi20rocsparse_direction_NS_24const_host_device_scalarIT2_EEPKiS6_PKS3_iiS8_S4_PS3_21rocsparse_index_base_b,"axG",@progbits,_ZN9rocsparseL22gebsrmvn_mxn_16_kernelILj48ELj16ELj3EfEEvi20rocsparse_direction_NS_24const_host_device_scalarIT2_EEPKiS6_PKS3_iiS8_S4_PS3_21rocsparse_index_base_b,comdat
.Lfunc_end28:
	.size	_ZN9rocsparseL22gebsrmvn_mxn_16_kernelILj48ELj16ELj3EfEEvi20rocsparse_direction_NS_24const_host_device_scalarIT2_EEPKiS6_PKS3_iiS8_S4_PS3_21rocsparse_index_base_b, .Lfunc_end28-_ZN9rocsparseL22gebsrmvn_mxn_16_kernelILj48ELj16ELj3EfEEvi20rocsparse_direction_NS_24const_host_device_scalarIT2_EEPKiS6_PKS3_iiS8_S4_PS3_21rocsparse_index_base_b
                                        ; -- End function
	.section	.AMDGPU.csdata,"",@progbits
; Kernel info:
; codeLenInByte = 1124
; NumSgprs: 20
; NumVgprs: 11
; ScratchSize: 0
; MemoryBound: 0
; FloatMode: 240
; IeeeMode: 1
; LDSByteSize: 192 bytes/workgroup (compile time only)
; SGPRBlocks: 2
; VGPRBlocks: 1
; NumSGPRsForWavesPerEU: 20
; NumVGPRsForWavesPerEU: 11
; Occupancy: 16
; WaveLimiterHint : 1
; COMPUTE_PGM_RSRC2:SCRATCH_EN: 0
; COMPUTE_PGM_RSRC2:USER_SGPR: 15
; COMPUTE_PGM_RSRC2:TRAP_HANDLER: 0
; COMPUTE_PGM_RSRC2:TGID_X_EN: 1
; COMPUTE_PGM_RSRC2:TGID_Y_EN: 0
; COMPUTE_PGM_RSRC2:TGID_Z_EN: 0
; COMPUTE_PGM_RSRC2:TIDIG_COMP_CNT: 0
	.section	.text._ZN9rocsparseL22gebsrmvn_mxn_16_kernelILj64ELj16ELj4EfEEvi20rocsparse_direction_NS_24const_host_device_scalarIT2_EEPKiS6_PKS3_iiS8_S4_PS3_21rocsparse_index_base_b,"axG",@progbits,_ZN9rocsparseL22gebsrmvn_mxn_16_kernelILj64ELj16ELj4EfEEvi20rocsparse_direction_NS_24const_host_device_scalarIT2_EEPKiS6_PKS3_iiS8_S4_PS3_21rocsparse_index_base_b,comdat
	.globl	_ZN9rocsparseL22gebsrmvn_mxn_16_kernelILj64ELj16ELj4EfEEvi20rocsparse_direction_NS_24const_host_device_scalarIT2_EEPKiS6_PKS3_iiS8_S4_PS3_21rocsparse_index_base_b ; -- Begin function _ZN9rocsparseL22gebsrmvn_mxn_16_kernelILj64ELj16ELj4EfEEvi20rocsparse_direction_NS_24const_host_device_scalarIT2_EEPKiS6_PKS3_iiS8_S4_PS3_21rocsparse_index_base_b
	.p2align	8
	.type	_ZN9rocsparseL22gebsrmvn_mxn_16_kernelILj64ELj16ELj4EfEEvi20rocsparse_direction_NS_24const_host_device_scalarIT2_EEPKiS6_PKS3_iiS8_S4_PS3_21rocsparse_index_base_b,@function
_ZN9rocsparseL22gebsrmvn_mxn_16_kernelILj64ELj16ELj4EfEEvi20rocsparse_direction_NS_24const_host_device_scalarIT2_EEPKiS6_PKS3_iiS8_S4_PS3_21rocsparse_index_base_b: ; @_ZN9rocsparseL22gebsrmvn_mxn_16_kernelILj64ELj16ELj4EfEEvi20rocsparse_direction_NS_24const_host_device_scalarIT2_EEPKiS6_PKS3_iiS8_S4_PS3_21rocsparse_index_base_b
; %bb.0:
	s_mov_b32 s8, s15
	s_clause 0x2
	s_load_b64 s[14:15], s[0:1], 0x48
	s_load_b64 s[10:11], s[0:1], 0x8
	s_load_b64 s[2:3], s[0:1], 0x38
	s_waitcnt lgkmcnt(0)
	s_bitcmp1_b32 s15, 0
	s_cselect_b32 s4, -1, 0
	s_delay_alu instid0(SALU_CYCLE_1)
	s_and_b32 vcc_lo, exec_lo, s4
	s_xor_b32 s4, s4, -1
	s_cbranch_vccnz .LBB29_2
; %bb.1:
	s_load_b32 s10, s[10:11], 0x0
.LBB29_2:
	s_and_not1_b32 vcc_lo, exec_lo, s4
	s_cbranch_vccnz .LBB29_4
; %bb.3:
	s_load_b32 s2, s[2:3], 0x0
.LBB29_4:
	s_waitcnt lgkmcnt(0)
	v_cmp_eq_f32_e64 s3, s10, 0
	v_cmp_eq_f32_e64 s4, s2, 1.0
	s_delay_alu instid0(VALU_DEP_1) | instskip(NEXT) | instid1(SALU_CYCLE_1)
	s_and_b32 s3, s3, s4
	s_and_b32 vcc_lo, exec_lo, s3
	s_cbranch_vccnz .LBB29_30
; %bb.5:
	s_clause 0x2
	s_load_b64 s[12:13], s[0:1], 0x40
	s_load_b32 s3, s[0:1], 0x4
	s_load_b64 s[4:5], s[0:1], 0x10
	v_dual_mov_b32 v3, 0 :: v_dual_and_b32 v4, 3, v0
	s_waitcnt lgkmcnt(0)
	s_cmp_eq_u32 s3, 1
	s_cselect_b32 vcc_lo, -1, 0
	s_cmp_lg_u32 s3, 1
	s_cselect_b32 s3, -1, 0
	s_ashr_i32 s9, s8, 31
	s_delay_alu instid0(SALU_CYCLE_1) | instskip(NEXT) | instid1(SALU_CYCLE_1)
	s_lshl_b64 s[6:7], s[8:9], 2
	s_add_u32 s4, s4, s6
	s_addc_u32 s5, s5, s7
	s_load_b64 s[16:17], s[4:5], 0x0
	s_waitcnt lgkmcnt(0)
	s_cmp_ge_i32 s16, s17
	s_cbranch_scc1 .LBB29_10
; %bb.6:
	s_clause 0x1
	s_load_b128 s[4:7], s[0:1], 0x18
	s_load_b64 s[0:1], s[0:1], 0x30
	v_lshrrev_b32_e32 v1, 4, v0
	v_lshl_or_b32 v3, s16, 6, v0
	v_mov_b32_e32 v2, 0
	s_lshl_b32 s9, s14, 6
	s_sub_i32 s11, s16, s14
	v_cndmask_b32_e32 v5, v4, v1, vcc_lo
	v_subrev_nc_u32_e32 v1, s9, v3
	v_mov_b32_e32 v3, v2
	s_sub_i32 s9, s17, s14
	s_set_inst_prefetch_distance 0x1
	s_branch .LBB29_8
	.p2align	6
.LBB29_7:                               ;   in Loop: Header=BB29_8 Depth=1
	s_or_b32 exec_lo, exec_lo, s15
	v_add_nc_u32_e32 v1, 64, v1
	s_add_i32 s11, s11, 1
	s_delay_alu instid0(SALU_CYCLE_1)
	s_cmp_ge_i32 s11, s9
	s_cbranch_scc1 .LBB29_10
.LBB29_8:                               ; =>This Inner Loop Header: Depth=1
	s_cmp_lt_i32 s11, s9
	s_cselect_b32 s16, -1, 0
	s_delay_alu instid0(SALU_CYCLE_1)
	s_and_saveexec_b32 s15, s16
	s_cbranch_execz .LBB29_7
; %bb.9:                                ;   in Loop: Header=BB29_8 Depth=1
	v_mov_b32_e32 v6, s11
	v_ashrrev_i32_e64 v7, 31, s11
	v_lshlrev_b64 v[8:9], 2, v[1:2]
	s_delay_alu instid0(VALU_DEP_2) | instskip(SKIP_1) | instid1(VALU_DEP_1)
	v_lshlrev_b64 v[6:7], 2, v[6:7]
	s_waitcnt lgkmcnt(0)
	v_add_co_u32 v6, vcc_lo, s4, v6
	s_delay_alu instid0(VALU_DEP_2) | instskip(NEXT) | instid1(VALU_DEP_4)
	v_add_co_ci_u32_e32 v7, vcc_lo, s5, v7, vcc_lo
	v_add_co_u32 v8, vcc_lo, s6, v8
	v_add_co_ci_u32_e32 v9, vcc_lo, s7, v9, vcc_lo
	global_load_b32 v6, v[6:7], off
	s_waitcnt vmcnt(0)
	v_subrev_nc_u32_e32 v6, s14, v6
	s_delay_alu instid0(VALU_DEP_1) | instskip(NEXT) | instid1(VALU_DEP_1)
	v_lshl_or_b32 v6, v6, 2, v5
	v_ashrrev_i32_e32 v7, 31, v6
	s_delay_alu instid0(VALU_DEP_1) | instskip(NEXT) | instid1(VALU_DEP_1)
	v_lshlrev_b64 v[6:7], 2, v[6:7]
	v_add_co_u32 v6, vcc_lo, s0, v6
	s_delay_alu instid0(VALU_DEP_2)
	v_add_co_ci_u32_e32 v7, vcc_lo, s1, v7, vcc_lo
	global_load_b32 v8, v[8:9], off
	global_load_b32 v6, v[6:7], off
	s_waitcnt vmcnt(0)
	v_fmac_f32_e32 v3, v8, v6
	s_branch .LBB29_7
.LBB29_10:
	s_set_inst_prefetch_distance 0x2
	v_lshlrev_b32_e32 v1, 2, v0
	s_and_b32 vcc_lo, exec_lo, s3
	ds_store_b32 v1, v3
	s_waitcnt lgkmcnt(0)
	s_barrier
	buffer_gl0_inv
	s_cbranch_vccz .LBB29_18
; %bb.11:
	s_mov_b32 s0, exec_lo
	v_cmpx_gt_u32_e32 2, v4
	s_cbranch_execz .LBB29_13
; %bb.12:
	ds_load_2addr_b32 v[5:6], v1 offset1:2
	s_waitcnt lgkmcnt(0)
	v_add_f32_e32 v2, v6, v5
	ds_store_b32 v1, v2
.LBB29_13:
	s_or_b32 exec_lo, exec_lo, s0
	s_delay_alu instid0(SALU_CYCLE_1)
	s_mov_b32 s0, exec_lo
	s_waitcnt lgkmcnt(0)
	s_barrier
	buffer_gl0_inv
	v_cmpx_eq_u32_e32 0, v4
	s_cbranch_execz .LBB29_15
; %bb.14:
	ds_load_2addr_b32 v[4:5], v1 offset1:1
	s_waitcnt lgkmcnt(0)
	v_add_f32_e32 v2, v5, v4
	ds_store_b32 v1, v2
.LBB29_15:
	s_or_b32 exec_lo, exec_lo, s0
	v_mov_b32_e32 v2, v3
	s_mov_b32 s0, exec_lo
	s_waitcnt lgkmcnt(0)
	s_barrier
	buffer_gl0_inv
	v_cmpx_gt_u32_e32 16, v0
	s_cbranch_execz .LBB29_17
; %bb.16:
	v_mad_u32_u24 v2, v0, 12, v1
	ds_load_b32 v2, v2
.LBB29_17:
	s_or_b32 exec_lo, exec_lo, s0
	s_branch .LBB29_26
.LBB29_18:
                                        ; implicit-def: $vgpr2
	s_cbranch_execz .LBB29_26
; %bb.19:
	s_mov_b32 s0, exec_lo
	v_cmpx_gt_u32_e32 32, v0
	s_cbranch_execz .LBB29_21
; %bb.20:
	ds_load_2addr_b32 v[4:5], v1 offset1:32
	s_waitcnt lgkmcnt(0)
	v_add_f32_e32 v2, v5, v4
	ds_store_b32 v1, v2
.LBB29_21:
	s_or_b32 exec_lo, exec_lo, s0
	s_delay_alu instid0(SALU_CYCLE_1)
	s_mov_b32 s0, exec_lo
	s_waitcnt lgkmcnt(0)
	buffer_gl0_inv
	v_cmpx_lt_u32_e32 15, v0
	s_xor_b32 s0, exec_lo, s0
	s_cbranch_execz .LBB29_23
; %bb.22:
	buffer_gl0_inv
                                        ; implicit-def: $vgpr1
.LBB29_23:
	s_and_not1_saveexec_b32 s0, s0
	s_cbranch_execz .LBB29_25
; %bb.24:
	ds_load_2addr_b32 v[2:3], v1 offset1:16
	s_waitcnt lgkmcnt(0)
	v_add_f32_e32 v2, v3, v2
	ds_store_b32 v1, v2
	s_waitcnt lgkmcnt(0)
	buffer_gl0_inv
	ds_load_b32 v3, v1
.LBB29_25:
	s_or_b32 exec_lo, exec_lo, s0
	s_waitcnt lgkmcnt(0)
	v_mov_b32_e32 v2, v3
.LBB29_26:
	s_mov_b32 s0, exec_lo
	v_cmpx_gt_u32_e32 16, v0
	s_cbranch_execz .LBB29_30
; %bb.27:
	v_cmp_eq_f32_e64 s0, s2, 0
	s_waitcnt lgkmcnt(0)
	v_mul_f32_e32 v2, s10, v2
	v_lshl_or_b32 v0, s8, 4, v0
	s_delay_alu instid0(VALU_DEP_3)
	s_and_b32 vcc_lo, exec_lo, s0
	s_mov_b32 s0, 0
	s_cbranch_vccz .LBB29_31
; %bb.28:
	v_mov_b32_e32 v1, 0
	s_delay_alu instid0(VALU_DEP_1) | instskip(NEXT) | instid1(VALU_DEP_1)
	v_lshlrev_b64 v[3:4], 2, v[0:1]
	v_add_co_u32 v3, vcc_lo, s12, v3
	s_delay_alu instid0(VALU_DEP_2)
	v_add_co_ci_u32_e32 v4, vcc_lo, s13, v4, vcc_lo
	global_store_b32 v[3:4], v2, off
	s_and_not1_b32 vcc_lo, exec_lo, s0
	s_cbranch_vccnz .LBB29_30
.LBB29_29:
	v_mov_b32_e32 v1, 0
	s_delay_alu instid0(VALU_DEP_1) | instskip(NEXT) | instid1(VALU_DEP_1)
	v_lshlrev_b64 v[0:1], 2, v[0:1]
	v_add_co_u32 v0, vcc_lo, s12, v0
	s_delay_alu instid0(VALU_DEP_2)
	v_add_co_ci_u32_e32 v1, vcc_lo, s13, v1, vcc_lo
	global_load_b32 v3, v[0:1], off
	s_waitcnt vmcnt(0)
	v_fmac_f32_e32 v2, s2, v3
	global_store_b32 v[0:1], v2, off
.LBB29_30:
	s_nop 0
	s_sendmsg sendmsg(MSG_DEALLOC_VGPRS)
	s_endpgm
.LBB29_31:
	s_branch .LBB29_29
	.section	.rodata,"a",@progbits
	.p2align	6, 0x0
	.amdhsa_kernel _ZN9rocsparseL22gebsrmvn_mxn_16_kernelILj64ELj16ELj4EfEEvi20rocsparse_direction_NS_24const_host_device_scalarIT2_EEPKiS6_PKS3_iiS8_S4_PS3_21rocsparse_index_base_b
		.amdhsa_group_segment_fixed_size 256
		.amdhsa_private_segment_fixed_size 0
		.amdhsa_kernarg_size 80
		.amdhsa_user_sgpr_count 15
		.amdhsa_user_sgpr_dispatch_ptr 0
		.amdhsa_user_sgpr_queue_ptr 0
		.amdhsa_user_sgpr_kernarg_segment_ptr 1
		.amdhsa_user_sgpr_dispatch_id 0
		.amdhsa_user_sgpr_private_segment_size 0
		.amdhsa_wavefront_size32 1
		.amdhsa_uses_dynamic_stack 0
		.amdhsa_enable_private_segment 0
		.amdhsa_system_sgpr_workgroup_id_x 1
		.amdhsa_system_sgpr_workgroup_id_y 0
		.amdhsa_system_sgpr_workgroup_id_z 0
		.amdhsa_system_sgpr_workgroup_info 0
		.amdhsa_system_vgpr_workitem_id 0
		.amdhsa_next_free_vgpr 10
		.amdhsa_next_free_sgpr 18
		.amdhsa_reserve_vcc 1
		.amdhsa_float_round_mode_32 0
		.amdhsa_float_round_mode_16_64 0
		.amdhsa_float_denorm_mode_32 3
		.amdhsa_float_denorm_mode_16_64 3
		.amdhsa_dx10_clamp 1
		.amdhsa_ieee_mode 1
		.amdhsa_fp16_overflow 0
		.amdhsa_workgroup_processor_mode 1
		.amdhsa_memory_ordered 1
		.amdhsa_forward_progress 0
		.amdhsa_shared_vgpr_count 0
		.amdhsa_exception_fp_ieee_invalid_op 0
		.amdhsa_exception_fp_denorm_src 0
		.amdhsa_exception_fp_ieee_div_zero 0
		.amdhsa_exception_fp_ieee_overflow 0
		.amdhsa_exception_fp_ieee_underflow 0
		.amdhsa_exception_fp_ieee_inexact 0
		.amdhsa_exception_int_div_zero 0
	.end_amdhsa_kernel
	.section	.text._ZN9rocsparseL22gebsrmvn_mxn_16_kernelILj64ELj16ELj4EfEEvi20rocsparse_direction_NS_24const_host_device_scalarIT2_EEPKiS6_PKS3_iiS8_S4_PS3_21rocsparse_index_base_b,"axG",@progbits,_ZN9rocsparseL22gebsrmvn_mxn_16_kernelILj64ELj16ELj4EfEEvi20rocsparse_direction_NS_24const_host_device_scalarIT2_EEPKiS6_PKS3_iiS8_S4_PS3_21rocsparse_index_base_b,comdat
.Lfunc_end29:
	.size	_ZN9rocsparseL22gebsrmvn_mxn_16_kernelILj64ELj16ELj4EfEEvi20rocsparse_direction_NS_24const_host_device_scalarIT2_EEPKiS6_PKS3_iiS8_S4_PS3_21rocsparse_index_base_b, .Lfunc_end29-_ZN9rocsparseL22gebsrmvn_mxn_16_kernelILj64ELj16ELj4EfEEvi20rocsparse_direction_NS_24const_host_device_scalarIT2_EEPKiS6_PKS3_iiS8_S4_PS3_21rocsparse_index_base_b
                                        ; -- End function
	.section	.AMDGPU.csdata,"",@progbits
; Kernel info:
; codeLenInByte = 996
; NumSgprs: 20
; NumVgprs: 10
; ScratchSize: 0
; MemoryBound: 0
; FloatMode: 240
; IeeeMode: 1
; LDSByteSize: 256 bytes/workgroup (compile time only)
; SGPRBlocks: 2
; VGPRBlocks: 1
; NumSGPRsForWavesPerEU: 20
; NumVGPRsForWavesPerEU: 10
; Occupancy: 16
; WaveLimiterHint : 1
; COMPUTE_PGM_RSRC2:SCRATCH_EN: 0
; COMPUTE_PGM_RSRC2:USER_SGPR: 15
; COMPUTE_PGM_RSRC2:TRAP_HANDLER: 0
; COMPUTE_PGM_RSRC2:TGID_X_EN: 1
; COMPUTE_PGM_RSRC2:TGID_Y_EN: 0
; COMPUTE_PGM_RSRC2:TGID_Z_EN: 0
; COMPUTE_PGM_RSRC2:TIDIG_COMP_CNT: 0
	.section	.text._ZN9rocsparseL22gebsrmvn_mxn_16_kernelILj80ELj16ELj5EfEEvi20rocsparse_direction_NS_24const_host_device_scalarIT2_EEPKiS6_PKS3_iiS8_S4_PS3_21rocsparse_index_base_b,"axG",@progbits,_ZN9rocsparseL22gebsrmvn_mxn_16_kernelILj80ELj16ELj5EfEEvi20rocsparse_direction_NS_24const_host_device_scalarIT2_EEPKiS6_PKS3_iiS8_S4_PS3_21rocsparse_index_base_b,comdat
	.globl	_ZN9rocsparseL22gebsrmvn_mxn_16_kernelILj80ELj16ELj5EfEEvi20rocsparse_direction_NS_24const_host_device_scalarIT2_EEPKiS6_PKS3_iiS8_S4_PS3_21rocsparse_index_base_b ; -- Begin function _ZN9rocsparseL22gebsrmvn_mxn_16_kernelILj80ELj16ELj5EfEEvi20rocsparse_direction_NS_24const_host_device_scalarIT2_EEPKiS6_PKS3_iiS8_S4_PS3_21rocsparse_index_base_b
	.p2align	8
	.type	_ZN9rocsparseL22gebsrmvn_mxn_16_kernelILj80ELj16ELj5EfEEvi20rocsparse_direction_NS_24const_host_device_scalarIT2_EEPKiS6_PKS3_iiS8_S4_PS3_21rocsparse_index_base_b,@function
_ZN9rocsparseL22gebsrmvn_mxn_16_kernelILj80ELj16ELj5EfEEvi20rocsparse_direction_NS_24const_host_device_scalarIT2_EEPKiS6_PKS3_iiS8_S4_PS3_21rocsparse_index_base_b: ; @_ZN9rocsparseL22gebsrmvn_mxn_16_kernelILj80ELj16ELj5EfEEvi20rocsparse_direction_NS_24const_host_device_scalarIT2_EEPKiS6_PKS3_iiS8_S4_PS3_21rocsparse_index_base_b
; %bb.0:
	s_mov_b32 s8, s15
	s_clause 0x2
	s_load_b64 s[14:15], s[0:1], 0x48
	s_load_b64 s[10:11], s[0:1], 0x8
	;; [unrolled: 1-line block ×3, first 2 shown]
	s_waitcnt lgkmcnt(0)
	s_bitcmp1_b32 s15, 0
	s_cselect_b32 s4, -1, 0
	s_delay_alu instid0(SALU_CYCLE_1)
	s_and_b32 vcc_lo, exec_lo, s4
	s_xor_b32 s4, s4, -1
	s_cbranch_vccnz .LBB30_2
; %bb.1:
	s_load_b32 s10, s[10:11], 0x0
.LBB30_2:
	s_and_not1_b32 vcc_lo, exec_lo, s4
	s_cbranch_vccnz .LBB30_4
; %bb.3:
	s_load_b32 s2, s[2:3], 0x0
.LBB30_4:
	s_waitcnt lgkmcnt(0)
	v_cmp_eq_f32_e64 s3, s10, 0
	v_cmp_eq_f32_e64 s4, s2, 1.0
	s_delay_alu instid0(VALU_DEP_1) | instskip(NEXT) | instid1(SALU_CYCLE_1)
	s_and_b32 s3, s3, s4
	s_and_b32 vcc_lo, exec_lo, s3
	s_cbranch_vccnz .LBB30_34
; %bb.5:
	s_clause 0x2
	s_load_b64 s[12:13], s[0:1], 0x40
	s_load_b32 s3, s[0:1], 0x4
	s_load_b64 s[4:5], s[0:1], 0x10
	v_mul_u32_u24_e32 v1, 0x3334, v0
	v_mov_b32_e32 v6, 0
	s_delay_alu instid0(VALU_DEP_2) | instskip(NEXT) | instid1(VALU_DEP_1)
	v_lshrrev_b32_e32 v1, 16, v1
	v_mul_lo_u16 v1, v1, 5
	s_delay_alu instid0(VALU_DEP_1)
	v_sub_nc_u16 v7, v0, v1
	s_waitcnt lgkmcnt(0)
	s_cmp_eq_u32 s3, 1
	s_cselect_b32 vcc_lo, -1, 0
	s_cmp_lg_u32 s3, 1
	s_cselect_b32 s3, -1, 0
	s_ashr_i32 s9, s8, 31
	s_delay_alu instid0(SALU_CYCLE_1) | instskip(NEXT) | instid1(SALU_CYCLE_1)
	s_lshl_b64 s[6:7], s[8:9], 2
	s_add_u32 s4, s4, s6
	s_addc_u32 s5, s5, s7
	s_load_b64 s[16:17], s[4:5], 0x0
	s_waitcnt lgkmcnt(0)
	s_cmp_ge_i32 s16, s17
	s_cbranch_scc1 .LBB30_10
; %bb.6:
	v_lshrrev_b32_e32 v3, 4, v0
	s_clause 0x1
	s_load_b128 s[4:7], s[0:1], 0x18
	s_load_b64 s[0:1], s[0:1], 0x30
	v_and_b32_e32 v5, 0xffff, v0
	s_mul_i32 s9, s14, 0x50
	s_sub_i32 s11, s16, s14
	v_mul_lo_u16 v1, v3, 52
	s_delay_alu instid0(VALU_DEP_1) | instskip(NEXT) | instid1(VALU_DEP_1)
	v_lshrrev_b16 v1, 8, v1
	v_mul_lo_u16 v4, v1, 5
	v_mad_u64_u32 v[1:2], null, 0x50, s16, v[0:1]
	v_mov_b32_e32 v2, 0
	v_mul_u32_u24_e32 v5, 0x334, v5
	s_delay_alu instid0(VALU_DEP_4) | instskip(SKIP_1) | instid1(VALU_DEP_4)
	v_sub_nc_u16 v3, v3, v4
	v_and_b32_e32 v4, 0xffff, v7
	v_mov_b32_e32 v6, v2
	v_subrev_nc_u32_e32 v1, s9, v1
	s_delay_alu instid0(VALU_DEP_4) | instskip(SKIP_2) | instid1(VALU_DEP_2)
	v_and_b32_e32 v3, 0xff, v3
	v_lshrrev_b32_e32 v8, 16, v5
	s_sub_i32 s9, s17, s14
	v_cndmask_b32_e32 v3, v4, v3, vcc_lo
	s_set_inst_prefetch_distance 0x1
	s_branch .LBB30_8
	.p2align	6
.LBB30_7:                               ;   in Loop: Header=BB30_8 Depth=1
	s_or_b32 exec_lo, exec_lo, s15
	v_add_nc_u32_e32 v1, 0x50, v1
	s_add_i32 s11, s11, 1
	s_delay_alu instid0(SALU_CYCLE_1)
	s_cmp_ge_i32 s11, s9
	s_cbranch_scc1 .LBB30_10
.LBB30_8:                               ; =>This Inner Loop Header: Depth=1
	v_add_nc_u32_e32 v4, s11, v8
	s_mov_b32 s15, exec_lo
	s_delay_alu instid0(VALU_DEP_1)
	v_cmpx_gt_i32_e64 s9, v4
	s_cbranch_execz .LBB30_7
; %bb.9:                                ;   in Loop: Header=BB30_8 Depth=1
	v_ashrrev_i32_e32 v5, 31, v4
	s_delay_alu instid0(VALU_DEP_1) | instskip(SKIP_1) | instid1(VALU_DEP_1)
	v_lshlrev_b64 v[4:5], 2, v[4:5]
	s_waitcnt lgkmcnt(0)
	v_add_co_u32 v4, vcc_lo, s4, v4
	s_delay_alu instid0(VALU_DEP_2) | instskip(SKIP_3) | instid1(VALU_DEP_1)
	v_add_co_ci_u32_e32 v5, vcc_lo, s5, v5, vcc_lo
	global_load_b32 v4, v[4:5], off
	s_waitcnt vmcnt(0)
	v_subrev_nc_u32_e32 v9, s14, v4
	v_mad_u64_u32 v[4:5], null, v9, 5, v[3:4]
	v_lshlrev_b64 v[9:10], 2, v[1:2]
	s_delay_alu instid0(VALU_DEP_1) | instskip(NEXT) | instid1(VALU_DEP_3)
	v_add_co_u32 v9, vcc_lo, s6, v9
	v_ashrrev_i32_e32 v5, 31, v4
	s_delay_alu instid0(VALU_DEP_3) | instskip(NEXT) | instid1(VALU_DEP_2)
	v_add_co_ci_u32_e32 v10, vcc_lo, s7, v10, vcc_lo
	v_lshlrev_b64 v[4:5], 2, v[4:5]
	s_delay_alu instid0(VALU_DEP_1) | instskip(NEXT) | instid1(VALU_DEP_2)
	v_add_co_u32 v4, vcc_lo, s0, v4
	v_add_co_ci_u32_e32 v5, vcc_lo, s1, v5, vcc_lo
	global_load_b32 v9, v[9:10], off
	global_load_b32 v4, v[4:5], off
	s_waitcnt vmcnt(0)
	v_fmac_f32_e32 v6, v9, v4
	s_branch .LBB30_7
.LBB30_10:
	s_set_inst_prefetch_distance 0x2
	v_lshlrev_b32_e32 v1, 2, v0
	s_and_b32 vcc_lo, exec_lo, s3
	ds_store_b32 v1, v6
	s_waitcnt lgkmcnt(0)
	s_barrier
	buffer_gl0_inv
	s_cbranch_vccz .LBB30_20
; %bb.11:
	v_cmp_eq_u16_e32 vcc_lo, 0, v7
	s_and_saveexec_b32 s0, vcc_lo
	s_cbranch_execz .LBB30_13
; %bb.12:
	ds_load_2addr_b32 v[2:3], v1 offset1:4
	s_waitcnt lgkmcnt(0)
	v_add_f32_e32 v2, v3, v2
	ds_store_b32 v1, v2
.LBB30_13:
	s_or_b32 exec_lo, exec_lo, s0
	s_delay_alu instid0(SALU_CYCLE_1)
	s_mov_b32 s1, exec_lo
	s_waitcnt lgkmcnt(0)
	s_barrier
	buffer_gl0_inv
	v_cmpx_gt_u16_e32 2, v7
	s_cbranch_execz .LBB30_15
; %bb.14:
	ds_load_2addr_b32 v[2:3], v1 offset1:2
	s_waitcnt lgkmcnt(0)
	v_add_f32_e32 v2, v3, v2
	ds_store_b32 v1, v2
.LBB30_15:
	s_or_b32 exec_lo, exec_lo, s1
	s_waitcnt lgkmcnt(0)
	s_barrier
	buffer_gl0_inv
	s_and_saveexec_b32 s0, vcc_lo
	s_cbranch_execz .LBB30_17
; %bb.16:
	ds_load_2addr_b32 v[2:3], v1 offset1:1
	s_waitcnt lgkmcnt(0)
	v_add_f32_e32 v2, v3, v2
	ds_store_b32 v1, v2
.LBB30_17:
	s_or_b32 exec_lo, exec_lo, s0
	v_mov_b32_e32 v2, v6
	s_mov_b32 s0, exec_lo
	s_waitcnt lgkmcnt(0)
	s_barrier
	buffer_gl0_inv
	v_cmpx_gt_u32_e32 16, v0
	s_cbranch_execz .LBB30_19
; %bb.18:
	v_lshl_add_u32 v2, v0, 4, v1
	ds_load_b32 v2, v2
.LBB30_19:
	s_or_b32 exec_lo, exec_lo, s0
	v_cmp_gt_u32_e64 s0, 16, v0
	s_branch .LBB30_30
.LBB30_20:
                                        ; implicit-def: $vgpr2
	v_cmp_gt_u32_e64 s0, 16, v0
	s_cbranch_execz .LBB30_30
; %bb.21:
	v_cmp_lt_u32_e32 vcc_lo, 15, v0
	s_delay_alu instid0(VALU_DEP_2)
	s_and_saveexec_b32 s1, s0
	s_cbranch_execz .LBB30_23
; %bb.22:
	s_waitcnt lgkmcnt(0)
	ds_load_2addr_stride64_b32 v[2:3], v1 offset1:1
	s_waitcnt lgkmcnt(0)
	v_add_f32_e32 v2, v3, v2
	ds_store_b32 v1, v2
.LBB30_23:
	s_or_b32 exec_lo, exec_lo, s1
	s_delay_alu instid0(SALU_CYCLE_1)
	s_mov_b32 s1, exec_lo
	s_waitcnt lgkmcnt(0)
	s_barrier
	buffer_gl0_inv
	v_cmpx_gt_u32_e32 32, v0
	s_cbranch_execz .LBB30_25
; %bb.24:
	ds_load_2addr_b32 v[2:3], v1 offset1:32
	s_waitcnt lgkmcnt(0)
	v_add_f32_e32 v2, v3, v2
	ds_store_b32 v1, v2
.LBB30_25:
	s_or_b32 exec_lo, exec_lo, s1
	s_waitcnt lgkmcnt(0)
	buffer_gl0_inv
	s_and_saveexec_b32 s0, vcc_lo
	s_delay_alu instid0(SALU_CYCLE_1)
	s_xor_b32 s0, exec_lo, s0
	s_cbranch_execz .LBB30_27
; %bb.26:
	buffer_gl0_inv
                                        ; implicit-def: $vgpr1
.LBB30_27:
	s_and_not1_saveexec_b32 s0, s0
	s_cbranch_execz .LBB30_29
; %bb.28:
	ds_load_2addr_b32 v[2:3], v1 offset1:16
	s_waitcnt lgkmcnt(0)
	v_add_f32_e32 v2, v3, v2
	ds_store_b32 v1, v2
	s_waitcnt lgkmcnt(0)
	buffer_gl0_inv
	ds_load_b32 v6, v1
.LBB30_29:
	s_or_b32 exec_lo, exec_lo, s0
	s_waitcnt lgkmcnt(0)
	v_mov_b32_e32 v2, v6
.LBB30_30:
	s_mov_b32 s0, exec_lo
	v_cmpx_gt_u32_e32 16, v0
	s_cbranch_execz .LBB30_34
; %bb.31:
	v_cmp_eq_f32_e64 s0, s2, 0
	s_waitcnt lgkmcnt(0)
	v_mul_f32_e32 v2, s10, v2
	v_lshl_or_b32 v0, s8, 4, v0
	s_delay_alu instid0(VALU_DEP_3)
	s_and_b32 vcc_lo, exec_lo, s0
	s_mov_b32 s0, 0
	s_cbranch_vccz .LBB30_35
; %bb.32:
	v_mov_b32_e32 v1, 0
	s_delay_alu instid0(VALU_DEP_1) | instskip(NEXT) | instid1(VALU_DEP_1)
	v_lshlrev_b64 v[3:4], 2, v[0:1]
	v_add_co_u32 v3, vcc_lo, s12, v3
	s_delay_alu instid0(VALU_DEP_2)
	v_add_co_ci_u32_e32 v4, vcc_lo, s13, v4, vcc_lo
	global_store_b32 v[3:4], v2, off
	s_and_not1_b32 vcc_lo, exec_lo, s0
	s_cbranch_vccnz .LBB30_34
.LBB30_33:
	v_mov_b32_e32 v1, 0
	s_delay_alu instid0(VALU_DEP_1) | instskip(NEXT) | instid1(VALU_DEP_1)
	v_lshlrev_b64 v[0:1], 2, v[0:1]
	v_add_co_u32 v0, vcc_lo, s12, v0
	s_delay_alu instid0(VALU_DEP_2)
	v_add_co_ci_u32_e32 v1, vcc_lo, s13, v1, vcc_lo
	global_load_b32 v3, v[0:1], off
	s_waitcnt vmcnt(0)
	v_fmac_f32_e32 v2, s2, v3
	global_store_b32 v[0:1], v2, off
.LBB30_34:
	s_nop 0
	s_sendmsg sendmsg(MSG_DEALLOC_VGPRS)
	s_endpgm
.LBB30_35:
	s_branch .LBB30_33
	.section	.rodata,"a",@progbits
	.p2align	6, 0x0
	.amdhsa_kernel _ZN9rocsparseL22gebsrmvn_mxn_16_kernelILj80ELj16ELj5EfEEvi20rocsparse_direction_NS_24const_host_device_scalarIT2_EEPKiS6_PKS3_iiS8_S4_PS3_21rocsparse_index_base_b
		.amdhsa_group_segment_fixed_size 320
		.amdhsa_private_segment_fixed_size 0
		.amdhsa_kernarg_size 80
		.amdhsa_user_sgpr_count 15
		.amdhsa_user_sgpr_dispatch_ptr 0
		.amdhsa_user_sgpr_queue_ptr 0
		.amdhsa_user_sgpr_kernarg_segment_ptr 1
		.amdhsa_user_sgpr_dispatch_id 0
		.amdhsa_user_sgpr_private_segment_size 0
		.amdhsa_wavefront_size32 1
		.amdhsa_uses_dynamic_stack 0
		.amdhsa_enable_private_segment 0
		.amdhsa_system_sgpr_workgroup_id_x 1
		.amdhsa_system_sgpr_workgroup_id_y 0
		.amdhsa_system_sgpr_workgroup_id_z 0
		.amdhsa_system_sgpr_workgroup_info 0
		.amdhsa_system_vgpr_workitem_id 0
		.amdhsa_next_free_vgpr 11
		.amdhsa_next_free_sgpr 18
		.amdhsa_reserve_vcc 1
		.amdhsa_float_round_mode_32 0
		.amdhsa_float_round_mode_16_64 0
		.amdhsa_float_denorm_mode_32 3
		.amdhsa_float_denorm_mode_16_64 3
		.amdhsa_dx10_clamp 1
		.amdhsa_ieee_mode 1
		.amdhsa_fp16_overflow 0
		.amdhsa_workgroup_processor_mode 1
		.amdhsa_memory_ordered 1
		.amdhsa_forward_progress 0
		.amdhsa_shared_vgpr_count 0
		.amdhsa_exception_fp_ieee_invalid_op 0
		.amdhsa_exception_fp_denorm_src 0
		.amdhsa_exception_fp_ieee_div_zero 0
		.amdhsa_exception_fp_ieee_overflow 0
		.amdhsa_exception_fp_ieee_underflow 0
		.amdhsa_exception_fp_ieee_inexact 0
		.amdhsa_exception_int_div_zero 0
	.end_amdhsa_kernel
	.section	.text._ZN9rocsparseL22gebsrmvn_mxn_16_kernelILj80ELj16ELj5EfEEvi20rocsparse_direction_NS_24const_host_device_scalarIT2_EEPKiS6_PKS3_iiS8_S4_PS3_21rocsparse_index_base_b,"axG",@progbits,_ZN9rocsparseL22gebsrmvn_mxn_16_kernelILj80ELj16ELj5EfEEvi20rocsparse_direction_NS_24const_host_device_scalarIT2_EEPKiS6_PKS3_iiS8_S4_PS3_21rocsparse_index_base_b,comdat
.Lfunc_end30:
	.size	_ZN9rocsparseL22gebsrmvn_mxn_16_kernelILj80ELj16ELj5EfEEvi20rocsparse_direction_NS_24const_host_device_scalarIT2_EEPKiS6_PKS3_iiS8_S4_PS3_21rocsparse_index_base_b, .Lfunc_end30-_ZN9rocsparseL22gebsrmvn_mxn_16_kernelILj80ELj16ELj5EfEEvi20rocsparse_direction_NS_24const_host_device_scalarIT2_EEPKiS6_PKS3_iiS8_S4_PS3_21rocsparse_index_base_b
                                        ; -- End function
	.section	.AMDGPU.csdata,"",@progbits
; Kernel info:
; codeLenInByte = 1248
; NumSgprs: 20
; NumVgprs: 11
; ScratchSize: 0
; MemoryBound: 0
; FloatMode: 240
; IeeeMode: 1
; LDSByteSize: 320 bytes/workgroup (compile time only)
; SGPRBlocks: 2
; VGPRBlocks: 1
; NumSGPRsForWavesPerEU: 20
; NumVGPRsForWavesPerEU: 11
; Occupancy: 16
; WaveLimiterHint : 1
; COMPUTE_PGM_RSRC2:SCRATCH_EN: 0
; COMPUTE_PGM_RSRC2:USER_SGPR: 15
; COMPUTE_PGM_RSRC2:TRAP_HANDLER: 0
; COMPUTE_PGM_RSRC2:TGID_X_EN: 1
; COMPUTE_PGM_RSRC2:TGID_Y_EN: 0
; COMPUTE_PGM_RSRC2:TGID_Z_EN: 0
; COMPUTE_PGM_RSRC2:TIDIG_COMP_CNT: 0
	.section	.text._ZN9rocsparseL22gebsrmvn_mxn_16_kernelILj96ELj16ELj6EfEEvi20rocsparse_direction_NS_24const_host_device_scalarIT2_EEPKiS6_PKS3_iiS8_S4_PS3_21rocsparse_index_base_b,"axG",@progbits,_ZN9rocsparseL22gebsrmvn_mxn_16_kernelILj96ELj16ELj6EfEEvi20rocsparse_direction_NS_24const_host_device_scalarIT2_EEPKiS6_PKS3_iiS8_S4_PS3_21rocsparse_index_base_b,comdat
	.globl	_ZN9rocsparseL22gebsrmvn_mxn_16_kernelILj96ELj16ELj6EfEEvi20rocsparse_direction_NS_24const_host_device_scalarIT2_EEPKiS6_PKS3_iiS8_S4_PS3_21rocsparse_index_base_b ; -- Begin function _ZN9rocsparseL22gebsrmvn_mxn_16_kernelILj96ELj16ELj6EfEEvi20rocsparse_direction_NS_24const_host_device_scalarIT2_EEPKiS6_PKS3_iiS8_S4_PS3_21rocsparse_index_base_b
	.p2align	8
	.type	_ZN9rocsparseL22gebsrmvn_mxn_16_kernelILj96ELj16ELj6EfEEvi20rocsparse_direction_NS_24const_host_device_scalarIT2_EEPKiS6_PKS3_iiS8_S4_PS3_21rocsparse_index_base_b,@function
_ZN9rocsparseL22gebsrmvn_mxn_16_kernelILj96ELj16ELj6EfEEvi20rocsparse_direction_NS_24const_host_device_scalarIT2_EEPKiS6_PKS3_iiS8_S4_PS3_21rocsparse_index_base_b: ; @_ZN9rocsparseL22gebsrmvn_mxn_16_kernelILj96ELj16ELj6EfEEvi20rocsparse_direction_NS_24const_host_device_scalarIT2_EEPKiS6_PKS3_iiS8_S4_PS3_21rocsparse_index_base_b
; %bb.0:
	s_mov_b32 s8, s15
	s_clause 0x2
	s_load_b64 s[14:15], s[0:1], 0x48
	s_load_b64 s[10:11], s[0:1], 0x8
	s_load_b64 s[2:3], s[0:1], 0x38
	s_waitcnt lgkmcnt(0)
	s_bitcmp1_b32 s15, 0
	s_cselect_b32 s4, -1, 0
	s_delay_alu instid0(SALU_CYCLE_1)
	s_and_b32 vcc_lo, exec_lo, s4
	s_xor_b32 s4, s4, -1
	s_cbranch_vccnz .LBB31_2
; %bb.1:
	s_load_b32 s10, s[10:11], 0x0
.LBB31_2:
	s_and_not1_b32 vcc_lo, exec_lo, s4
	s_cbranch_vccnz .LBB31_4
; %bb.3:
	s_load_b32 s2, s[2:3], 0x0
.LBB31_4:
	s_waitcnt lgkmcnt(0)
	v_cmp_eq_f32_e64 s3, s10, 0
	v_cmp_eq_f32_e64 s4, s2, 1.0
	s_delay_alu instid0(VALU_DEP_1) | instskip(NEXT) | instid1(SALU_CYCLE_1)
	s_and_b32 s3, s3, s4
	s_and_b32 vcc_lo, exec_lo, s3
	s_cbranch_vccnz .LBB31_34
; %bb.5:
	s_clause 0x2
	s_load_b64 s[12:13], s[0:1], 0x40
	s_load_b32 s3, s[0:1], 0x4
	s_load_b64 s[4:5], s[0:1], 0x10
	v_mul_u32_u24_e32 v1, 0x2aab, v0
	v_mov_b32_e32 v6, 0
	s_delay_alu instid0(VALU_DEP_2) | instskip(NEXT) | instid1(VALU_DEP_1)
	v_lshrrev_b32_e32 v1, 16, v1
	v_mul_lo_u16 v1, v1, 6
	s_delay_alu instid0(VALU_DEP_1)
	v_sub_nc_u16 v7, v0, v1
	s_waitcnt lgkmcnt(0)
	s_cmp_eq_u32 s3, 1
	s_cselect_b32 vcc_lo, -1, 0
	s_cmp_lg_u32 s3, 1
	s_cselect_b32 s3, -1, 0
	s_ashr_i32 s9, s8, 31
	s_delay_alu instid0(SALU_CYCLE_1) | instskip(NEXT) | instid1(SALU_CYCLE_1)
	s_lshl_b64 s[6:7], s[8:9], 2
	s_add_u32 s4, s4, s6
	s_addc_u32 s5, s5, s7
	s_load_b64 s[16:17], s[4:5], 0x0
	s_waitcnt lgkmcnt(0)
	s_cmp_ge_i32 s16, s17
	s_cbranch_scc1 .LBB31_10
; %bb.6:
	v_lshrrev_b32_e32 v3, 4, v0
	s_clause 0x1
	s_load_b128 s[4:7], s[0:1], 0x18
	s_load_b64 s[0:1], s[0:1], 0x30
	v_and_b32_e32 v5, 0xffff, v0
	s_mul_i32 s9, s14, 0x60
	s_sub_i32 s11, s16, s14
	v_mul_lo_u16 v1, v3, 43
	s_delay_alu instid0(VALU_DEP_1) | instskip(NEXT) | instid1(VALU_DEP_1)
	v_lshrrev_b16 v1, 8, v1
	v_mul_lo_u16 v4, v1, 6
	v_mad_u64_u32 v[1:2], null, 0x60, s16, v[0:1]
	v_mov_b32_e32 v2, 0
	v_mul_u32_u24_e32 v5, 0x2ab, v5
	s_delay_alu instid0(VALU_DEP_4) | instskip(SKIP_1) | instid1(VALU_DEP_4)
	v_sub_nc_u16 v3, v3, v4
	v_and_b32_e32 v4, 0xffff, v7
	v_mov_b32_e32 v6, v2
	v_subrev_nc_u32_e32 v1, s9, v1
	s_delay_alu instid0(VALU_DEP_4) | instskip(SKIP_2) | instid1(VALU_DEP_2)
	v_and_b32_e32 v3, 0xff, v3
	v_lshrrev_b32_e32 v8, 16, v5
	s_sub_i32 s9, s17, s14
	v_cndmask_b32_e32 v3, v4, v3, vcc_lo
	s_set_inst_prefetch_distance 0x1
	s_branch .LBB31_8
	.p2align	6
.LBB31_7:                               ;   in Loop: Header=BB31_8 Depth=1
	s_or_b32 exec_lo, exec_lo, s15
	v_add_nc_u32_e32 v1, 0x60, v1
	s_add_i32 s11, s11, 1
	s_delay_alu instid0(SALU_CYCLE_1)
	s_cmp_ge_i32 s11, s9
	s_cbranch_scc1 .LBB31_10
.LBB31_8:                               ; =>This Inner Loop Header: Depth=1
	v_add_nc_u32_e32 v4, s11, v8
	s_mov_b32 s15, exec_lo
	s_delay_alu instid0(VALU_DEP_1)
	v_cmpx_gt_i32_e64 s9, v4
	s_cbranch_execz .LBB31_7
; %bb.9:                                ;   in Loop: Header=BB31_8 Depth=1
	v_ashrrev_i32_e32 v5, 31, v4
	s_delay_alu instid0(VALU_DEP_1) | instskip(SKIP_1) | instid1(VALU_DEP_1)
	v_lshlrev_b64 v[4:5], 2, v[4:5]
	s_waitcnt lgkmcnt(0)
	v_add_co_u32 v4, vcc_lo, s4, v4
	s_delay_alu instid0(VALU_DEP_2) | instskip(SKIP_3) | instid1(VALU_DEP_1)
	v_add_co_ci_u32_e32 v5, vcc_lo, s5, v5, vcc_lo
	global_load_b32 v4, v[4:5], off
	s_waitcnt vmcnt(0)
	v_subrev_nc_u32_e32 v9, s14, v4
	v_mad_u64_u32 v[4:5], null, v9, 6, v[3:4]
	v_lshlrev_b64 v[9:10], 2, v[1:2]
	s_delay_alu instid0(VALU_DEP_1) | instskip(NEXT) | instid1(VALU_DEP_3)
	v_add_co_u32 v9, vcc_lo, s6, v9
	v_ashrrev_i32_e32 v5, 31, v4
	s_delay_alu instid0(VALU_DEP_3) | instskip(NEXT) | instid1(VALU_DEP_2)
	v_add_co_ci_u32_e32 v10, vcc_lo, s7, v10, vcc_lo
	v_lshlrev_b64 v[4:5], 2, v[4:5]
	s_delay_alu instid0(VALU_DEP_1) | instskip(NEXT) | instid1(VALU_DEP_2)
	v_add_co_u32 v4, vcc_lo, s0, v4
	v_add_co_ci_u32_e32 v5, vcc_lo, s1, v5, vcc_lo
	global_load_b32 v9, v[9:10], off
	global_load_b32 v4, v[4:5], off
	s_waitcnt vmcnt(0)
	v_fmac_f32_e32 v6, v9, v4
	s_branch .LBB31_7
.LBB31_10:
	s_set_inst_prefetch_distance 0x2
	v_lshlrev_b32_e32 v1, 2, v0
	s_and_b32 vcc_lo, exec_lo, s3
	ds_store_b32 v1, v6
	s_waitcnt lgkmcnt(0)
	s_barrier
	buffer_gl0_inv
	s_cbranch_vccz .LBB31_20
; %bb.11:
	v_cmp_gt_u16_e32 vcc_lo, 2, v7
	s_and_saveexec_b32 s0, vcc_lo
	s_cbranch_execz .LBB31_13
; %bb.12:
	ds_load_2addr_b32 v[2:3], v1 offset1:4
	s_waitcnt lgkmcnt(0)
	v_add_f32_e32 v2, v3, v2
	ds_store_b32 v1, v2
.LBB31_13:
	s_or_b32 exec_lo, exec_lo, s0
	s_waitcnt lgkmcnt(0)
	s_barrier
	buffer_gl0_inv
	s_and_saveexec_b32 s0, vcc_lo
	s_cbranch_execz .LBB31_15
; %bb.14:
	ds_load_2addr_b32 v[2:3], v1 offset1:2
	s_waitcnt lgkmcnt(0)
	v_add_f32_e32 v2, v3, v2
	ds_store_b32 v1, v2
.LBB31_15:
	s_or_b32 exec_lo, exec_lo, s0
	s_delay_alu instid0(SALU_CYCLE_1)
	s_mov_b32 s0, exec_lo
	s_waitcnt lgkmcnt(0)
	s_barrier
	buffer_gl0_inv
	v_cmpx_eq_u16_e32 0, v7
	s_cbranch_execz .LBB31_17
; %bb.16:
	ds_load_2addr_b32 v[2:3], v1 offset1:1
	s_waitcnt lgkmcnt(0)
	v_add_f32_e32 v2, v3, v2
	ds_store_b32 v1, v2
.LBB31_17:
	s_or_b32 exec_lo, exec_lo, s0
	v_mov_b32_e32 v2, v6
	s_mov_b32 s0, exec_lo
	s_waitcnt lgkmcnt(0)
	s_barrier
	buffer_gl0_inv
	v_cmpx_gt_u32_e32 16, v0
	s_cbranch_execz .LBB31_19
; %bb.18:
	v_mad_u32_u24 v2, v0, 20, v1
	ds_load_b32 v2, v2
.LBB31_19:
	s_or_b32 exec_lo, exec_lo, s0
	s_branch .LBB31_30
.LBB31_20:
                                        ; implicit-def: $vgpr2
	s_cbranch_execz .LBB31_30
; %bb.21:
	v_cmp_gt_u32_e32 vcc_lo, 32, v0
	s_and_saveexec_b32 s0, vcc_lo
	s_cbranch_execz .LBB31_23
; %bb.22:
	s_waitcnt lgkmcnt(0)
	ds_load_2addr_stride64_b32 v[2:3], v1 offset1:1
	s_waitcnt lgkmcnt(0)
	v_add_f32_e32 v2, v3, v2
	ds_store_b32 v1, v2
.LBB31_23:
	s_or_b32 exec_lo, exec_lo, s0
	s_waitcnt lgkmcnt(0)
	s_barrier
	buffer_gl0_inv
	s_and_saveexec_b32 s0, vcc_lo
	s_cbranch_execz .LBB31_25
; %bb.24:
	ds_load_2addr_b32 v[2:3], v1 offset1:32
	s_waitcnt lgkmcnt(0)
	v_add_f32_e32 v2, v3, v2
	ds_store_b32 v1, v2
.LBB31_25:
	s_or_b32 exec_lo, exec_lo, s0
	s_delay_alu instid0(SALU_CYCLE_1)
	s_mov_b32 s0, exec_lo
	s_waitcnt lgkmcnt(0)
	buffer_gl0_inv
	v_cmpx_lt_u32_e32 15, v0
	s_xor_b32 s0, exec_lo, s0
	s_cbranch_execz .LBB31_27
; %bb.26:
	buffer_gl0_inv
                                        ; implicit-def: $vgpr1
.LBB31_27:
	s_and_not1_saveexec_b32 s0, s0
	s_cbranch_execz .LBB31_29
; %bb.28:
	ds_load_2addr_b32 v[2:3], v1 offset1:16
	s_waitcnt lgkmcnt(0)
	v_add_f32_e32 v2, v3, v2
	ds_store_b32 v1, v2
	s_waitcnt lgkmcnt(0)
	buffer_gl0_inv
	ds_load_b32 v6, v1
.LBB31_29:
	s_or_b32 exec_lo, exec_lo, s0
	s_waitcnt lgkmcnt(0)
	v_mov_b32_e32 v2, v6
.LBB31_30:
	s_mov_b32 s0, exec_lo
	v_cmpx_gt_u32_e32 16, v0
	s_cbranch_execz .LBB31_34
; %bb.31:
	v_cmp_eq_f32_e64 s0, s2, 0
	s_waitcnt lgkmcnt(0)
	v_mul_f32_e32 v2, s10, v2
	v_lshl_or_b32 v0, s8, 4, v0
	s_delay_alu instid0(VALU_DEP_3)
	s_and_b32 vcc_lo, exec_lo, s0
	s_mov_b32 s0, 0
	s_cbranch_vccz .LBB31_35
; %bb.32:
	v_mov_b32_e32 v1, 0
	s_delay_alu instid0(VALU_DEP_1) | instskip(NEXT) | instid1(VALU_DEP_1)
	v_lshlrev_b64 v[3:4], 2, v[0:1]
	v_add_co_u32 v3, vcc_lo, s12, v3
	s_delay_alu instid0(VALU_DEP_2)
	v_add_co_ci_u32_e32 v4, vcc_lo, s13, v4, vcc_lo
	global_store_b32 v[3:4], v2, off
	s_and_not1_b32 vcc_lo, exec_lo, s0
	s_cbranch_vccnz .LBB31_34
.LBB31_33:
	v_mov_b32_e32 v1, 0
	s_delay_alu instid0(VALU_DEP_1) | instskip(NEXT) | instid1(VALU_DEP_1)
	v_lshlrev_b64 v[0:1], 2, v[0:1]
	v_add_co_u32 v0, vcc_lo, s12, v0
	s_delay_alu instid0(VALU_DEP_2)
	v_add_co_ci_u32_e32 v1, vcc_lo, s13, v1, vcc_lo
	global_load_b32 v3, v[0:1], off
	s_waitcnt vmcnt(0)
	v_fmac_f32_e32 v2, s2, v3
	global_store_b32 v[0:1], v2, off
.LBB31_34:
	s_nop 0
	s_sendmsg sendmsg(MSG_DEALLOC_VGPRS)
	s_endpgm
.LBB31_35:
	s_branch .LBB31_33
	.section	.rodata,"a",@progbits
	.p2align	6, 0x0
	.amdhsa_kernel _ZN9rocsparseL22gebsrmvn_mxn_16_kernelILj96ELj16ELj6EfEEvi20rocsparse_direction_NS_24const_host_device_scalarIT2_EEPKiS6_PKS3_iiS8_S4_PS3_21rocsparse_index_base_b
		.amdhsa_group_segment_fixed_size 384
		.amdhsa_private_segment_fixed_size 0
		.amdhsa_kernarg_size 80
		.amdhsa_user_sgpr_count 15
		.amdhsa_user_sgpr_dispatch_ptr 0
		.amdhsa_user_sgpr_queue_ptr 0
		.amdhsa_user_sgpr_kernarg_segment_ptr 1
		.amdhsa_user_sgpr_dispatch_id 0
		.amdhsa_user_sgpr_private_segment_size 0
		.amdhsa_wavefront_size32 1
		.amdhsa_uses_dynamic_stack 0
		.amdhsa_enable_private_segment 0
		.amdhsa_system_sgpr_workgroup_id_x 1
		.amdhsa_system_sgpr_workgroup_id_y 0
		.amdhsa_system_sgpr_workgroup_id_z 0
		.amdhsa_system_sgpr_workgroup_info 0
		.amdhsa_system_vgpr_workitem_id 0
		.amdhsa_next_free_vgpr 11
		.amdhsa_next_free_sgpr 18
		.amdhsa_reserve_vcc 1
		.amdhsa_float_round_mode_32 0
		.amdhsa_float_round_mode_16_64 0
		.amdhsa_float_denorm_mode_32 3
		.amdhsa_float_denorm_mode_16_64 3
		.amdhsa_dx10_clamp 1
		.amdhsa_ieee_mode 1
		.amdhsa_fp16_overflow 0
		.amdhsa_workgroup_processor_mode 1
		.amdhsa_memory_ordered 1
		.amdhsa_forward_progress 0
		.amdhsa_shared_vgpr_count 0
		.amdhsa_exception_fp_ieee_invalid_op 0
		.amdhsa_exception_fp_denorm_src 0
		.amdhsa_exception_fp_ieee_div_zero 0
		.amdhsa_exception_fp_ieee_overflow 0
		.amdhsa_exception_fp_ieee_underflow 0
		.amdhsa_exception_fp_ieee_inexact 0
		.amdhsa_exception_int_div_zero 0
	.end_amdhsa_kernel
	.section	.text._ZN9rocsparseL22gebsrmvn_mxn_16_kernelILj96ELj16ELj6EfEEvi20rocsparse_direction_NS_24const_host_device_scalarIT2_EEPKiS6_PKS3_iiS8_S4_PS3_21rocsparse_index_base_b,"axG",@progbits,_ZN9rocsparseL22gebsrmvn_mxn_16_kernelILj96ELj16ELj6EfEEvi20rocsparse_direction_NS_24const_host_device_scalarIT2_EEPKiS6_PKS3_iiS8_S4_PS3_21rocsparse_index_base_b,comdat
.Lfunc_end31:
	.size	_ZN9rocsparseL22gebsrmvn_mxn_16_kernelILj96ELj16ELj6EfEEvi20rocsparse_direction_NS_24const_host_device_scalarIT2_EEPKiS6_PKS3_iiS8_S4_PS3_21rocsparse_index_base_b, .Lfunc_end31-_ZN9rocsparseL22gebsrmvn_mxn_16_kernelILj96ELj16ELj6EfEEvi20rocsparse_direction_NS_24const_host_device_scalarIT2_EEPKiS6_PKS3_iiS8_S4_PS3_21rocsparse_index_base_b
                                        ; -- End function
	.section	.AMDGPU.csdata,"",@progbits
; Kernel info:
; codeLenInByte = 1224
; NumSgprs: 20
; NumVgprs: 11
; ScratchSize: 0
; MemoryBound: 0
; FloatMode: 240
; IeeeMode: 1
; LDSByteSize: 384 bytes/workgroup (compile time only)
; SGPRBlocks: 2
; VGPRBlocks: 1
; NumSGPRsForWavesPerEU: 20
; NumVGPRsForWavesPerEU: 11
; Occupancy: 16
; WaveLimiterHint : 1
; COMPUTE_PGM_RSRC2:SCRATCH_EN: 0
; COMPUTE_PGM_RSRC2:USER_SGPR: 15
; COMPUTE_PGM_RSRC2:TRAP_HANDLER: 0
; COMPUTE_PGM_RSRC2:TGID_X_EN: 1
; COMPUTE_PGM_RSRC2:TGID_Y_EN: 0
; COMPUTE_PGM_RSRC2:TGID_Z_EN: 0
; COMPUTE_PGM_RSRC2:TIDIG_COMP_CNT: 0
	.section	.text._ZN9rocsparseL22gebsrmvn_mxn_16_kernelILj112ELj16ELj7EfEEvi20rocsparse_direction_NS_24const_host_device_scalarIT2_EEPKiS6_PKS3_iiS8_S4_PS3_21rocsparse_index_base_b,"axG",@progbits,_ZN9rocsparseL22gebsrmvn_mxn_16_kernelILj112ELj16ELj7EfEEvi20rocsparse_direction_NS_24const_host_device_scalarIT2_EEPKiS6_PKS3_iiS8_S4_PS3_21rocsparse_index_base_b,comdat
	.globl	_ZN9rocsparseL22gebsrmvn_mxn_16_kernelILj112ELj16ELj7EfEEvi20rocsparse_direction_NS_24const_host_device_scalarIT2_EEPKiS6_PKS3_iiS8_S4_PS3_21rocsparse_index_base_b ; -- Begin function _ZN9rocsparseL22gebsrmvn_mxn_16_kernelILj112ELj16ELj7EfEEvi20rocsparse_direction_NS_24const_host_device_scalarIT2_EEPKiS6_PKS3_iiS8_S4_PS3_21rocsparse_index_base_b
	.p2align	8
	.type	_ZN9rocsparseL22gebsrmvn_mxn_16_kernelILj112ELj16ELj7EfEEvi20rocsparse_direction_NS_24const_host_device_scalarIT2_EEPKiS6_PKS3_iiS8_S4_PS3_21rocsparse_index_base_b,@function
_ZN9rocsparseL22gebsrmvn_mxn_16_kernelILj112ELj16ELj7EfEEvi20rocsparse_direction_NS_24const_host_device_scalarIT2_EEPKiS6_PKS3_iiS8_S4_PS3_21rocsparse_index_base_b: ; @_ZN9rocsparseL22gebsrmvn_mxn_16_kernelILj112ELj16ELj7EfEEvi20rocsparse_direction_NS_24const_host_device_scalarIT2_EEPKiS6_PKS3_iiS8_S4_PS3_21rocsparse_index_base_b
; %bb.0:
	s_mov_b32 s8, s15
	s_clause 0x2
	s_load_b64 s[14:15], s[0:1], 0x48
	s_load_b64 s[10:11], s[0:1], 0x8
	;; [unrolled: 1-line block ×3, first 2 shown]
	s_waitcnt lgkmcnt(0)
	s_bitcmp1_b32 s15, 0
	s_cselect_b32 s4, -1, 0
	s_delay_alu instid0(SALU_CYCLE_1)
	s_and_b32 vcc_lo, exec_lo, s4
	s_xor_b32 s4, s4, -1
	s_cbranch_vccnz .LBB32_2
; %bb.1:
	s_load_b32 s10, s[10:11], 0x0
.LBB32_2:
	s_and_not1_b32 vcc_lo, exec_lo, s4
	s_cbranch_vccnz .LBB32_4
; %bb.3:
	s_load_b32 s2, s[2:3], 0x0
.LBB32_4:
	s_waitcnt lgkmcnt(0)
	v_cmp_eq_f32_e64 s3, s10, 0
	v_cmp_eq_f32_e64 s4, s2, 1.0
	s_delay_alu instid0(VALU_DEP_1) | instskip(NEXT) | instid1(SALU_CYCLE_1)
	s_and_b32 s3, s3, s4
	s_and_b32 vcc_lo, exec_lo, s3
	s_cbranch_vccnz .LBB32_34
; %bb.5:
	s_clause 0x2
	s_load_b64 s[12:13], s[0:1], 0x40
	s_load_b32 s3, s[0:1], 0x4
	s_load_b64 s[4:5], s[0:1], 0x10
	v_mul_u32_u24_e32 v1, 0x2493, v0
	v_mov_b32_e32 v6, 0
	s_delay_alu instid0(VALU_DEP_2) | instskip(NEXT) | instid1(VALU_DEP_1)
	v_lshrrev_b32_e32 v1, 16, v1
	v_mul_lo_u16 v1, v1, 7
	s_delay_alu instid0(VALU_DEP_1)
	v_sub_nc_u16 v7, v0, v1
	s_waitcnt lgkmcnt(0)
	s_cmp_eq_u32 s3, 1
	s_cselect_b32 vcc_lo, -1, 0
	s_cmp_lg_u32 s3, 1
	s_cselect_b32 s3, -1, 0
	s_ashr_i32 s9, s8, 31
	s_delay_alu instid0(SALU_CYCLE_1) | instskip(NEXT) | instid1(SALU_CYCLE_1)
	s_lshl_b64 s[6:7], s[8:9], 2
	s_add_u32 s4, s4, s6
	s_addc_u32 s5, s5, s7
	s_load_b64 s[16:17], s[4:5], 0x0
	s_waitcnt lgkmcnt(0)
	s_cmp_ge_i32 s16, s17
	s_cbranch_scc1 .LBB32_10
; %bb.6:
	v_lshrrev_b32_e32 v3, 4, v0
	s_clause 0x1
	s_load_b128 s[4:7], s[0:1], 0x18
	s_load_b64 s[0:1], s[0:1], 0x30
	v_and_b32_e32 v5, 0xffff, v0
	s_mul_i32 s9, s14, 0x70
	s_sub_i32 s11, s16, s14
	v_mul_lo_u16 v1, v3, 37
	s_delay_alu instid0(VALU_DEP_1) | instskip(NEXT) | instid1(VALU_DEP_1)
	v_lshrrev_b16 v1, 8, v1
	v_mul_lo_u16 v4, v1, 7
	v_mad_u64_u32 v[1:2], null, 0x70, s16, v[0:1]
	v_mov_b32_e32 v2, 0
	v_mul_u32_u24_e32 v5, 0x24a, v5
	s_delay_alu instid0(VALU_DEP_4) | instskip(SKIP_1) | instid1(VALU_DEP_4)
	v_sub_nc_u16 v3, v3, v4
	v_and_b32_e32 v4, 0xffff, v7
	v_mov_b32_e32 v6, v2
	v_subrev_nc_u32_e32 v1, s9, v1
	s_delay_alu instid0(VALU_DEP_4) | instskip(SKIP_2) | instid1(VALU_DEP_2)
	v_and_b32_e32 v3, 0xff, v3
	v_lshrrev_b32_e32 v8, 16, v5
	s_sub_i32 s9, s17, s14
	v_cndmask_b32_e32 v3, v4, v3, vcc_lo
	s_set_inst_prefetch_distance 0x1
	s_branch .LBB32_8
	.p2align	6
.LBB32_7:                               ;   in Loop: Header=BB32_8 Depth=1
	s_or_b32 exec_lo, exec_lo, s15
	v_add_nc_u32_e32 v1, 0x70, v1
	s_add_i32 s11, s11, 1
	s_delay_alu instid0(SALU_CYCLE_1)
	s_cmp_ge_i32 s11, s9
	s_cbranch_scc1 .LBB32_10
.LBB32_8:                               ; =>This Inner Loop Header: Depth=1
	v_add_nc_u32_e32 v4, s11, v8
	s_mov_b32 s15, exec_lo
	s_delay_alu instid0(VALU_DEP_1)
	v_cmpx_gt_i32_e64 s9, v4
	s_cbranch_execz .LBB32_7
; %bb.9:                                ;   in Loop: Header=BB32_8 Depth=1
	v_ashrrev_i32_e32 v5, 31, v4
	s_delay_alu instid0(VALU_DEP_1) | instskip(SKIP_1) | instid1(VALU_DEP_1)
	v_lshlrev_b64 v[4:5], 2, v[4:5]
	s_waitcnt lgkmcnt(0)
	v_add_co_u32 v4, vcc_lo, s4, v4
	s_delay_alu instid0(VALU_DEP_2) | instskip(SKIP_3) | instid1(VALU_DEP_1)
	v_add_co_ci_u32_e32 v5, vcc_lo, s5, v5, vcc_lo
	global_load_b32 v4, v[4:5], off
	s_waitcnt vmcnt(0)
	v_subrev_nc_u32_e32 v9, s14, v4
	v_mad_u64_u32 v[4:5], null, v9, 7, v[3:4]
	v_lshlrev_b64 v[9:10], 2, v[1:2]
	s_delay_alu instid0(VALU_DEP_1) | instskip(NEXT) | instid1(VALU_DEP_3)
	v_add_co_u32 v9, vcc_lo, s6, v9
	v_ashrrev_i32_e32 v5, 31, v4
	s_delay_alu instid0(VALU_DEP_3) | instskip(NEXT) | instid1(VALU_DEP_2)
	v_add_co_ci_u32_e32 v10, vcc_lo, s7, v10, vcc_lo
	v_lshlrev_b64 v[4:5], 2, v[4:5]
	s_delay_alu instid0(VALU_DEP_1) | instskip(NEXT) | instid1(VALU_DEP_2)
	v_add_co_u32 v4, vcc_lo, s0, v4
	v_add_co_ci_u32_e32 v5, vcc_lo, s1, v5, vcc_lo
	global_load_b32 v9, v[9:10], off
	global_load_b32 v4, v[4:5], off
	s_waitcnt vmcnt(0)
	v_fmac_f32_e32 v6, v9, v4
	s_branch .LBB32_7
.LBB32_10:
	s_set_inst_prefetch_distance 0x2
	v_lshlrev_b32_e32 v1, 2, v0
	s_and_b32 vcc_lo, exec_lo, s3
	ds_store_b32 v1, v6
	s_waitcnt lgkmcnt(0)
	s_barrier
	buffer_gl0_inv
	s_cbranch_vccz .LBB32_20
; %bb.11:
	s_mov_b32 s0, exec_lo
	v_cmpx_gt_u16_e32 3, v7
	s_cbranch_execz .LBB32_13
; %bb.12:
	ds_load_2addr_b32 v[2:3], v1 offset1:4
	s_waitcnt lgkmcnt(0)
	v_add_f32_e32 v2, v3, v2
	ds_store_b32 v1, v2
.LBB32_13:
	s_or_b32 exec_lo, exec_lo, s0
	s_delay_alu instid0(SALU_CYCLE_1)
	s_mov_b32 s0, exec_lo
	s_waitcnt lgkmcnt(0)
	s_barrier
	buffer_gl0_inv
	v_cmpx_gt_u16_e32 2, v7
	s_cbranch_execz .LBB32_15
; %bb.14:
	ds_load_2addr_b32 v[2:3], v1 offset1:2
	s_waitcnt lgkmcnt(0)
	v_add_f32_e32 v2, v3, v2
	ds_store_b32 v1, v2
.LBB32_15:
	s_or_b32 exec_lo, exec_lo, s0
	s_delay_alu instid0(SALU_CYCLE_1)
	s_mov_b32 s0, exec_lo
	s_waitcnt lgkmcnt(0)
	s_barrier
	buffer_gl0_inv
	v_cmpx_eq_u16_e32 0, v7
	s_cbranch_execz .LBB32_17
; %bb.16:
	ds_load_2addr_b32 v[2:3], v1 offset1:1
	s_waitcnt lgkmcnt(0)
	v_add_f32_e32 v2, v3, v2
	ds_store_b32 v1, v2
.LBB32_17:
	s_or_b32 exec_lo, exec_lo, s0
	v_mov_b32_e32 v2, v6
	s_mov_b32 s0, exec_lo
	s_waitcnt lgkmcnt(0)
	s_barrier
	buffer_gl0_inv
	v_cmpx_gt_u32_e32 16, v0
	s_cbranch_execz .LBB32_19
; %bb.18:
	v_mad_u32_u24 v2, v0, 24, v1
	ds_load_b32 v2, v2
.LBB32_19:
	s_or_b32 exec_lo, exec_lo, s0
	s_branch .LBB32_30
.LBB32_20:
                                        ; implicit-def: $vgpr2
	s_cbranch_execz .LBB32_30
; %bb.21:
	s_mov_b32 s0, exec_lo
	v_cmpx_gt_u32_e32 48, v0
	s_cbranch_execz .LBB32_23
; %bb.22:
	s_waitcnt lgkmcnt(0)
	ds_load_2addr_stride64_b32 v[2:3], v1 offset1:1
	s_waitcnt lgkmcnt(0)
	v_add_f32_e32 v2, v3, v2
	ds_store_b32 v1, v2
.LBB32_23:
	s_or_b32 exec_lo, exec_lo, s0
	s_delay_alu instid0(SALU_CYCLE_1)
	s_mov_b32 s0, exec_lo
	s_waitcnt lgkmcnt(0)
	s_barrier
	buffer_gl0_inv
	v_cmpx_gt_u32_e32 32, v0
	s_cbranch_execz .LBB32_25
; %bb.24:
	ds_load_2addr_b32 v[2:3], v1 offset1:32
	s_waitcnt lgkmcnt(0)
	v_add_f32_e32 v2, v3, v2
	ds_store_b32 v1, v2
.LBB32_25:
	s_or_b32 exec_lo, exec_lo, s0
	s_delay_alu instid0(SALU_CYCLE_1)
	s_mov_b32 s0, exec_lo
	s_waitcnt lgkmcnt(0)
	buffer_gl0_inv
	v_cmpx_lt_u32_e32 15, v0
	s_xor_b32 s0, exec_lo, s0
	s_cbranch_execz .LBB32_27
; %bb.26:
	buffer_gl0_inv
                                        ; implicit-def: $vgpr1
.LBB32_27:
	s_and_not1_saveexec_b32 s0, s0
	s_cbranch_execz .LBB32_29
; %bb.28:
	ds_load_2addr_b32 v[2:3], v1 offset1:16
	s_waitcnt lgkmcnt(0)
	v_add_f32_e32 v2, v3, v2
	ds_store_b32 v1, v2
	s_waitcnt lgkmcnt(0)
	buffer_gl0_inv
	ds_load_b32 v6, v1
.LBB32_29:
	s_or_b32 exec_lo, exec_lo, s0
	s_waitcnt lgkmcnt(0)
	v_mov_b32_e32 v2, v6
.LBB32_30:
	s_mov_b32 s0, exec_lo
	v_cmpx_gt_u32_e32 16, v0
	s_cbranch_execz .LBB32_34
; %bb.31:
	v_cmp_eq_f32_e64 s0, s2, 0
	s_waitcnt lgkmcnt(0)
	v_mul_f32_e32 v2, s10, v2
	v_lshl_or_b32 v0, s8, 4, v0
	s_delay_alu instid0(VALU_DEP_3)
	s_and_b32 vcc_lo, exec_lo, s0
	s_mov_b32 s0, 0
	s_cbranch_vccz .LBB32_35
; %bb.32:
	v_mov_b32_e32 v1, 0
	s_delay_alu instid0(VALU_DEP_1) | instskip(NEXT) | instid1(VALU_DEP_1)
	v_lshlrev_b64 v[3:4], 2, v[0:1]
	v_add_co_u32 v3, vcc_lo, s12, v3
	s_delay_alu instid0(VALU_DEP_2)
	v_add_co_ci_u32_e32 v4, vcc_lo, s13, v4, vcc_lo
	global_store_b32 v[3:4], v2, off
	s_and_not1_b32 vcc_lo, exec_lo, s0
	s_cbranch_vccnz .LBB32_34
.LBB32_33:
	v_mov_b32_e32 v1, 0
	s_delay_alu instid0(VALU_DEP_1) | instskip(NEXT) | instid1(VALU_DEP_1)
	v_lshlrev_b64 v[0:1], 2, v[0:1]
	v_add_co_u32 v0, vcc_lo, s12, v0
	s_delay_alu instid0(VALU_DEP_2)
	v_add_co_ci_u32_e32 v1, vcc_lo, s13, v1, vcc_lo
	global_load_b32 v3, v[0:1], off
	s_waitcnt vmcnt(0)
	v_fmac_f32_e32 v2, s2, v3
	global_store_b32 v[0:1], v2, off
.LBB32_34:
	s_nop 0
	s_sendmsg sendmsg(MSG_DEALLOC_VGPRS)
	s_endpgm
.LBB32_35:
	s_branch .LBB32_33
	.section	.rodata,"a",@progbits
	.p2align	6, 0x0
	.amdhsa_kernel _ZN9rocsparseL22gebsrmvn_mxn_16_kernelILj112ELj16ELj7EfEEvi20rocsparse_direction_NS_24const_host_device_scalarIT2_EEPKiS6_PKS3_iiS8_S4_PS3_21rocsparse_index_base_b
		.amdhsa_group_segment_fixed_size 448
		.amdhsa_private_segment_fixed_size 0
		.amdhsa_kernarg_size 80
		.amdhsa_user_sgpr_count 15
		.amdhsa_user_sgpr_dispatch_ptr 0
		.amdhsa_user_sgpr_queue_ptr 0
		.amdhsa_user_sgpr_kernarg_segment_ptr 1
		.amdhsa_user_sgpr_dispatch_id 0
		.amdhsa_user_sgpr_private_segment_size 0
		.amdhsa_wavefront_size32 1
		.amdhsa_uses_dynamic_stack 0
		.amdhsa_enable_private_segment 0
		.amdhsa_system_sgpr_workgroup_id_x 1
		.amdhsa_system_sgpr_workgroup_id_y 0
		.amdhsa_system_sgpr_workgroup_id_z 0
		.amdhsa_system_sgpr_workgroup_info 0
		.amdhsa_system_vgpr_workitem_id 0
		.amdhsa_next_free_vgpr 11
		.amdhsa_next_free_sgpr 18
		.amdhsa_reserve_vcc 1
		.amdhsa_float_round_mode_32 0
		.amdhsa_float_round_mode_16_64 0
		.amdhsa_float_denorm_mode_32 3
		.amdhsa_float_denorm_mode_16_64 3
		.amdhsa_dx10_clamp 1
		.amdhsa_ieee_mode 1
		.amdhsa_fp16_overflow 0
		.amdhsa_workgroup_processor_mode 1
		.amdhsa_memory_ordered 1
		.amdhsa_forward_progress 0
		.amdhsa_shared_vgpr_count 0
		.amdhsa_exception_fp_ieee_invalid_op 0
		.amdhsa_exception_fp_denorm_src 0
		.amdhsa_exception_fp_ieee_div_zero 0
		.amdhsa_exception_fp_ieee_overflow 0
		.amdhsa_exception_fp_ieee_underflow 0
		.amdhsa_exception_fp_ieee_inexact 0
		.amdhsa_exception_int_div_zero 0
	.end_amdhsa_kernel
	.section	.text._ZN9rocsparseL22gebsrmvn_mxn_16_kernelILj112ELj16ELj7EfEEvi20rocsparse_direction_NS_24const_host_device_scalarIT2_EEPKiS6_PKS3_iiS8_S4_PS3_21rocsparse_index_base_b,"axG",@progbits,_ZN9rocsparseL22gebsrmvn_mxn_16_kernelILj112ELj16ELj7EfEEvi20rocsparse_direction_NS_24const_host_device_scalarIT2_EEPKiS6_PKS3_iiS8_S4_PS3_21rocsparse_index_base_b,comdat
.Lfunc_end32:
	.size	_ZN9rocsparseL22gebsrmvn_mxn_16_kernelILj112ELj16ELj7EfEEvi20rocsparse_direction_NS_24const_host_device_scalarIT2_EEPKiS6_PKS3_iiS8_S4_PS3_21rocsparse_index_base_b, .Lfunc_end32-_ZN9rocsparseL22gebsrmvn_mxn_16_kernelILj112ELj16ELj7EfEEvi20rocsparse_direction_NS_24const_host_device_scalarIT2_EEPKiS6_PKS3_iiS8_S4_PS3_21rocsparse_index_base_b
                                        ; -- End function
	.section	.AMDGPU.csdata,"",@progbits
; Kernel info:
; codeLenInByte = 1240
; NumSgprs: 20
; NumVgprs: 11
; ScratchSize: 0
; MemoryBound: 0
; FloatMode: 240
; IeeeMode: 1
; LDSByteSize: 448 bytes/workgroup (compile time only)
; SGPRBlocks: 2
; VGPRBlocks: 1
; NumSGPRsForWavesPerEU: 20
; NumVGPRsForWavesPerEU: 11
; Occupancy: 16
; WaveLimiterHint : 1
; COMPUTE_PGM_RSRC2:SCRATCH_EN: 0
; COMPUTE_PGM_RSRC2:USER_SGPR: 15
; COMPUTE_PGM_RSRC2:TRAP_HANDLER: 0
; COMPUTE_PGM_RSRC2:TGID_X_EN: 1
; COMPUTE_PGM_RSRC2:TGID_Y_EN: 0
; COMPUTE_PGM_RSRC2:TGID_Z_EN: 0
; COMPUTE_PGM_RSRC2:TIDIG_COMP_CNT: 0
	.section	.text._ZN9rocsparseL22gebsrmvn_mxn_16_kernelILj128ELj16ELj8EfEEvi20rocsparse_direction_NS_24const_host_device_scalarIT2_EEPKiS6_PKS3_iiS8_S4_PS3_21rocsparse_index_base_b,"axG",@progbits,_ZN9rocsparseL22gebsrmvn_mxn_16_kernelILj128ELj16ELj8EfEEvi20rocsparse_direction_NS_24const_host_device_scalarIT2_EEPKiS6_PKS3_iiS8_S4_PS3_21rocsparse_index_base_b,comdat
	.globl	_ZN9rocsparseL22gebsrmvn_mxn_16_kernelILj128ELj16ELj8EfEEvi20rocsparse_direction_NS_24const_host_device_scalarIT2_EEPKiS6_PKS3_iiS8_S4_PS3_21rocsparse_index_base_b ; -- Begin function _ZN9rocsparseL22gebsrmvn_mxn_16_kernelILj128ELj16ELj8EfEEvi20rocsparse_direction_NS_24const_host_device_scalarIT2_EEPKiS6_PKS3_iiS8_S4_PS3_21rocsparse_index_base_b
	.p2align	8
	.type	_ZN9rocsparseL22gebsrmvn_mxn_16_kernelILj128ELj16ELj8EfEEvi20rocsparse_direction_NS_24const_host_device_scalarIT2_EEPKiS6_PKS3_iiS8_S4_PS3_21rocsparse_index_base_b,@function
_ZN9rocsparseL22gebsrmvn_mxn_16_kernelILj128ELj16ELj8EfEEvi20rocsparse_direction_NS_24const_host_device_scalarIT2_EEPKiS6_PKS3_iiS8_S4_PS3_21rocsparse_index_base_b: ; @_ZN9rocsparseL22gebsrmvn_mxn_16_kernelILj128ELj16ELj8EfEEvi20rocsparse_direction_NS_24const_host_device_scalarIT2_EEPKiS6_PKS3_iiS8_S4_PS3_21rocsparse_index_base_b
; %bb.0:
	s_mov_b32 s8, s15
	s_clause 0x2
	s_load_b64 s[14:15], s[0:1], 0x48
	s_load_b64 s[10:11], s[0:1], 0x8
	;; [unrolled: 1-line block ×3, first 2 shown]
	s_waitcnt lgkmcnt(0)
	s_bitcmp1_b32 s15, 0
	s_cselect_b32 s4, -1, 0
	s_delay_alu instid0(SALU_CYCLE_1)
	s_and_b32 vcc_lo, exec_lo, s4
	s_xor_b32 s4, s4, -1
	s_cbranch_vccnz .LBB33_2
; %bb.1:
	s_load_b32 s10, s[10:11], 0x0
.LBB33_2:
	s_and_not1_b32 vcc_lo, exec_lo, s4
	s_cbranch_vccnz .LBB33_4
; %bb.3:
	s_load_b32 s2, s[2:3], 0x0
.LBB33_4:
	s_waitcnt lgkmcnt(0)
	v_cmp_eq_f32_e64 s3, s10, 0
	v_cmp_eq_f32_e64 s4, s2, 1.0
	s_delay_alu instid0(VALU_DEP_1) | instskip(NEXT) | instid1(SALU_CYCLE_1)
	s_and_b32 s3, s3, s4
	s_and_b32 vcc_lo, exec_lo, s3
	s_cbranch_vccnz .LBB33_34
; %bb.5:
	s_clause 0x2
	s_load_b64 s[12:13], s[0:1], 0x40
	s_load_b32 s3, s[0:1], 0x4
	s_load_b64 s[4:5], s[0:1], 0x10
	v_dual_mov_b32 v3, 0 :: v_dual_and_b32 v4, 7, v0
	s_waitcnt lgkmcnt(0)
	s_cmp_eq_u32 s3, 1
	s_cselect_b32 vcc_lo, -1, 0
	s_cmp_lg_u32 s3, 1
	s_cselect_b32 s3, -1, 0
	s_ashr_i32 s9, s8, 31
	s_delay_alu instid0(SALU_CYCLE_1) | instskip(NEXT) | instid1(SALU_CYCLE_1)
	s_lshl_b64 s[6:7], s[8:9], 2
	s_add_u32 s4, s4, s6
	s_addc_u32 s5, s5, s7
	s_load_b64 s[16:17], s[4:5], 0x0
	s_waitcnt lgkmcnt(0)
	s_cmp_ge_i32 s16, s17
	s_cbranch_scc1 .LBB33_10
; %bb.6:
	s_clause 0x1
	s_load_b128 s[4:7], s[0:1], 0x18
	s_load_b64 s[0:1], s[0:1], 0x30
	v_lshrrev_b32_e32 v1, 4, v0
	v_lshl_or_b32 v3, s16, 7, v0
	v_mov_b32_e32 v2, 0
	s_lshl_b32 s9, s14, 7
	s_sub_i32 s11, s16, s14
	v_cndmask_b32_e32 v5, v4, v1, vcc_lo
	v_subrev_nc_u32_e32 v1, s9, v3
	v_mov_b32_e32 v3, v2
	s_sub_i32 s9, s17, s14
	s_set_inst_prefetch_distance 0x1
	s_branch .LBB33_8
	.p2align	6
.LBB33_7:                               ;   in Loop: Header=BB33_8 Depth=1
	s_or_b32 exec_lo, exec_lo, s15
	v_add_nc_u32_e32 v1, 0x80, v1
	s_add_i32 s11, s11, 1
	s_delay_alu instid0(SALU_CYCLE_1)
	s_cmp_ge_i32 s11, s9
	s_cbranch_scc1 .LBB33_10
.LBB33_8:                               ; =>This Inner Loop Header: Depth=1
	s_cmp_lt_i32 s11, s9
	s_cselect_b32 s16, -1, 0
	s_delay_alu instid0(SALU_CYCLE_1)
	s_and_saveexec_b32 s15, s16
	s_cbranch_execz .LBB33_7
; %bb.9:                                ;   in Loop: Header=BB33_8 Depth=1
	v_mov_b32_e32 v6, s11
	v_ashrrev_i32_e64 v7, 31, s11
	v_lshlrev_b64 v[8:9], 2, v[1:2]
	s_delay_alu instid0(VALU_DEP_2) | instskip(SKIP_1) | instid1(VALU_DEP_1)
	v_lshlrev_b64 v[6:7], 2, v[6:7]
	s_waitcnt lgkmcnt(0)
	v_add_co_u32 v6, vcc_lo, s4, v6
	s_delay_alu instid0(VALU_DEP_2) | instskip(NEXT) | instid1(VALU_DEP_4)
	v_add_co_ci_u32_e32 v7, vcc_lo, s5, v7, vcc_lo
	v_add_co_u32 v8, vcc_lo, s6, v8
	v_add_co_ci_u32_e32 v9, vcc_lo, s7, v9, vcc_lo
	global_load_b32 v6, v[6:7], off
	s_waitcnt vmcnt(0)
	v_subrev_nc_u32_e32 v6, s14, v6
	s_delay_alu instid0(VALU_DEP_1) | instskip(NEXT) | instid1(VALU_DEP_1)
	v_lshl_or_b32 v6, v6, 3, v5
	v_ashrrev_i32_e32 v7, 31, v6
	s_delay_alu instid0(VALU_DEP_1) | instskip(NEXT) | instid1(VALU_DEP_1)
	v_lshlrev_b64 v[6:7], 2, v[6:7]
	v_add_co_u32 v6, vcc_lo, s0, v6
	s_delay_alu instid0(VALU_DEP_2)
	v_add_co_ci_u32_e32 v7, vcc_lo, s1, v7, vcc_lo
	global_load_b32 v8, v[8:9], off
	global_load_b32 v6, v[6:7], off
	s_waitcnt vmcnt(0)
	v_fmac_f32_e32 v3, v8, v6
	s_branch .LBB33_7
.LBB33_10:
	s_set_inst_prefetch_distance 0x2
	v_lshlrev_b32_e32 v1, 2, v0
	s_and_b32 vcc_lo, exec_lo, s3
	ds_store_b32 v1, v3
	s_waitcnt lgkmcnt(0)
	s_barrier
	buffer_gl0_inv
	s_cbranch_vccz .LBB33_20
; %bb.11:
	s_mov_b32 s0, exec_lo
	v_cmpx_gt_u32_e32 4, v4
	s_cbranch_execz .LBB33_13
; %bb.12:
	ds_load_2addr_b32 v[5:6], v1 offset1:4
	s_waitcnt lgkmcnt(0)
	v_add_f32_e32 v2, v6, v5
	ds_store_b32 v1, v2
.LBB33_13:
	s_or_b32 exec_lo, exec_lo, s0
	s_delay_alu instid0(SALU_CYCLE_1)
	s_mov_b32 s0, exec_lo
	s_waitcnt lgkmcnt(0)
	s_barrier
	buffer_gl0_inv
	v_cmpx_gt_u32_e32 2, v4
	s_cbranch_execz .LBB33_15
; %bb.14:
	ds_load_2addr_b32 v[5:6], v1 offset1:2
	s_waitcnt lgkmcnt(0)
	v_add_f32_e32 v2, v6, v5
	ds_store_b32 v1, v2
.LBB33_15:
	s_or_b32 exec_lo, exec_lo, s0
	s_delay_alu instid0(SALU_CYCLE_1)
	s_mov_b32 s0, exec_lo
	s_waitcnt lgkmcnt(0)
	s_barrier
	buffer_gl0_inv
	v_cmpx_eq_u32_e32 0, v4
	s_cbranch_execz .LBB33_17
; %bb.16:
	ds_load_2addr_b32 v[4:5], v1 offset1:1
	s_waitcnt lgkmcnt(0)
	v_add_f32_e32 v2, v5, v4
	ds_store_b32 v1, v2
.LBB33_17:
	s_or_b32 exec_lo, exec_lo, s0
	v_mov_b32_e32 v2, v3
	s_mov_b32 s0, exec_lo
	s_waitcnt lgkmcnt(0)
	s_barrier
	buffer_gl0_inv
	v_cmpx_gt_u32_e32 16, v0
	s_cbranch_execz .LBB33_19
; %bb.18:
	v_mad_u32_u24 v2, v0, 28, v1
	ds_load_b32 v2, v2
.LBB33_19:
	s_or_b32 exec_lo, exec_lo, s0
	s_branch .LBB33_30
.LBB33_20:
                                        ; implicit-def: $vgpr2
	s_cbranch_execz .LBB33_30
; %bb.21:
	s_mov_b32 s0, exec_lo
	v_cmpx_gt_u32_e32 64, v0
	s_cbranch_execz .LBB33_23
; %bb.22:
	ds_load_2addr_stride64_b32 v[4:5], v1 offset1:1
	s_waitcnt lgkmcnt(0)
	v_add_f32_e32 v2, v5, v4
	ds_store_b32 v1, v2
.LBB33_23:
	s_or_b32 exec_lo, exec_lo, s0
	s_delay_alu instid0(SALU_CYCLE_1)
	s_mov_b32 s0, exec_lo
	s_waitcnt lgkmcnt(0)
	s_barrier
	buffer_gl0_inv
	v_cmpx_gt_u32_e32 32, v0
	s_cbranch_execz .LBB33_25
; %bb.24:
	ds_load_2addr_b32 v[4:5], v1 offset1:32
	s_waitcnt lgkmcnt(0)
	v_add_f32_e32 v2, v5, v4
	ds_store_b32 v1, v2
.LBB33_25:
	s_or_b32 exec_lo, exec_lo, s0
	s_delay_alu instid0(SALU_CYCLE_1)
	s_mov_b32 s0, exec_lo
	s_waitcnt lgkmcnt(0)
	buffer_gl0_inv
	v_cmpx_lt_u32_e32 15, v0
	s_xor_b32 s0, exec_lo, s0
	s_cbranch_execz .LBB33_27
; %bb.26:
	buffer_gl0_inv
                                        ; implicit-def: $vgpr1
.LBB33_27:
	s_and_not1_saveexec_b32 s0, s0
	s_cbranch_execz .LBB33_29
; %bb.28:
	ds_load_2addr_b32 v[2:3], v1 offset1:16
	s_waitcnt lgkmcnt(0)
	v_add_f32_e32 v2, v3, v2
	ds_store_b32 v1, v2
	s_waitcnt lgkmcnt(0)
	buffer_gl0_inv
	ds_load_b32 v3, v1
.LBB33_29:
	s_or_b32 exec_lo, exec_lo, s0
	s_waitcnt lgkmcnt(0)
	v_mov_b32_e32 v2, v3
.LBB33_30:
	s_mov_b32 s0, exec_lo
	v_cmpx_gt_u32_e32 16, v0
	s_cbranch_execz .LBB33_34
; %bb.31:
	v_cmp_eq_f32_e64 s0, s2, 0
	s_waitcnt lgkmcnt(0)
	v_mul_f32_e32 v2, s10, v2
	v_lshl_or_b32 v0, s8, 4, v0
	s_delay_alu instid0(VALU_DEP_3)
	s_and_b32 vcc_lo, exec_lo, s0
	s_mov_b32 s0, 0
	s_cbranch_vccz .LBB33_35
; %bb.32:
	v_mov_b32_e32 v1, 0
	s_delay_alu instid0(VALU_DEP_1) | instskip(NEXT) | instid1(VALU_DEP_1)
	v_lshlrev_b64 v[3:4], 2, v[0:1]
	v_add_co_u32 v3, vcc_lo, s12, v3
	s_delay_alu instid0(VALU_DEP_2)
	v_add_co_ci_u32_e32 v4, vcc_lo, s13, v4, vcc_lo
	global_store_b32 v[3:4], v2, off
	s_and_not1_b32 vcc_lo, exec_lo, s0
	s_cbranch_vccnz .LBB33_34
.LBB33_33:
	v_mov_b32_e32 v1, 0
	s_delay_alu instid0(VALU_DEP_1) | instskip(NEXT) | instid1(VALU_DEP_1)
	v_lshlrev_b64 v[0:1], 2, v[0:1]
	v_add_co_u32 v0, vcc_lo, s12, v0
	s_delay_alu instid0(VALU_DEP_2)
	v_add_co_ci_u32_e32 v1, vcc_lo, s13, v1, vcc_lo
	global_load_b32 v3, v[0:1], off
	s_waitcnt vmcnt(0)
	v_fmac_f32_e32 v2, s2, v3
	global_store_b32 v[0:1], v2, off
.LBB33_34:
	s_nop 0
	s_sendmsg sendmsg(MSG_DEALLOC_VGPRS)
	s_endpgm
.LBB33_35:
	s_branch .LBB33_33
	.section	.rodata,"a",@progbits
	.p2align	6, 0x0
	.amdhsa_kernel _ZN9rocsparseL22gebsrmvn_mxn_16_kernelILj128ELj16ELj8EfEEvi20rocsparse_direction_NS_24const_host_device_scalarIT2_EEPKiS6_PKS3_iiS8_S4_PS3_21rocsparse_index_base_b
		.amdhsa_group_segment_fixed_size 512
		.amdhsa_private_segment_fixed_size 0
		.amdhsa_kernarg_size 80
		.amdhsa_user_sgpr_count 15
		.amdhsa_user_sgpr_dispatch_ptr 0
		.amdhsa_user_sgpr_queue_ptr 0
		.amdhsa_user_sgpr_kernarg_segment_ptr 1
		.amdhsa_user_sgpr_dispatch_id 0
		.amdhsa_user_sgpr_private_segment_size 0
		.amdhsa_wavefront_size32 1
		.amdhsa_uses_dynamic_stack 0
		.amdhsa_enable_private_segment 0
		.amdhsa_system_sgpr_workgroup_id_x 1
		.amdhsa_system_sgpr_workgroup_id_y 0
		.amdhsa_system_sgpr_workgroup_id_z 0
		.amdhsa_system_sgpr_workgroup_info 0
		.amdhsa_system_vgpr_workitem_id 0
		.amdhsa_next_free_vgpr 10
		.amdhsa_next_free_sgpr 18
		.amdhsa_reserve_vcc 1
		.amdhsa_float_round_mode_32 0
		.amdhsa_float_round_mode_16_64 0
		.amdhsa_float_denorm_mode_32 3
		.amdhsa_float_denorm_mode_16_64 3
		.amdhsa_dx10_clamp 1
		.amdhsa_ieee_mode 1
		.amdhsa_fp16_overflow 0
		.amdhsa_workgroup_processor_mode 1
		.amdhsa_memory_ordered 1
		.amdhsa_forward_progress 0
		.amdhsa_shared_vgpr_count 0
		.amdhsa_exception_fp_ieee_invalid_op 0
		.amdhsa_exception_fp_denorm_src 0
		.amdhsa_exception_fp_ieee_div_zero 0
		.amdhsa_exception_fp_ieee_overflow 0
		.amdhsa_exception_fp_ieee_underflow 0
		.amdhsa_exception_fp_ieee_inexact 0
		.amdhsa_exception_int_div_zero 0
	.end_amdhsa_kernel
	.section	.text._ZN9rocsparseL22gebsrmvn_mxn_16_kernelILj128ELj16ELj8EfEEvi20rocsparse_direction_NS_24const_host_device_scalarIT2_EEPKiS6_PKS3_iiS8_S4_PS3_21rocsparse_index_base_b,"axG",@progbits,_ZN9rocsparseL22gebsrmvn_mxn_16_kernelILj128ELj16ELj8EfEEvi20rocsparse_direction_NS_24const_host_device_scalarIT2_EEPKiS6_PKS3_iiS8_S4_PS3_21rocsparse_index_base_b,comdat
.Lfunc_end33:
	.size	_ZN9rocsparseL22gebsrmvn_mxn_16_kernelILj128ELj16ELj8EfEEvi20rocsparse_direction_NS_24const_host_device_scalarIT2_EEPKiS6_PKS3_iiS8_S4_PS3_21rocsparse_index_base_b, .Lfunc_end33-_ZN9rocsparseL22gebsrmvn_mxn_16_kernelILj128ELj16ELj8EfEEvi20rocsparse_direction_NS_24const_host_device_scalarIT2_EEPKiS6_PKS3_iiS8_S4_PS3_21rocsparse_index_base_b
                                        ; -- End function
	.section	.AMDGPU.csdata,"",@progbits
; Kernel info:
; codeLenInByte = 1120
; NumSgprs: 20
; NumVgprs: 10
; ScratchSize: 0
; MemoryBound: 0
; FloatMode: 240
; IeeeMode: 1
; LDSByteSize: 512 bytes/workgroup (compile time only)
; SGPRBlocks: 2
; VGPRBlocks: 1
; NumSGPRsForWavesPerEU: 20
; NumVGPRsForWavesPerEU: 10
; Occupancy: 16
; WaveLimiterHint : 1
; COMPUTE_PGM_RSRC2:SCRATCH_EN: 0
; COMPUTE_PGM_RSRC2:USER_SGPR: 15
; COMPUTE_PGM_RSRC2:TRAP_HANDLER: 0
; COMPUTE_PGM_RSRC2:TGID_X_EN: 1
; COMPUTE_PGM_RSRC2:TGID_Y_EN: 0
; COMPUTE_PGM_RSRC2:TGID_Z_EN: 0
; COMPUTE_PGM_RSRC2:TIDIG_COMP_CNT: 0
	.section	.text._ZN9rocsparseL22gebsrmvn_mxn_16_kernelILj52ELj13ELj1EdEEvi20rocsparse_direction_NS_24const_host_device_scalarIT2_EEPKiS6_PKS3_iiS8_S4_PS3_21rocsparse_index_base_b,"axG",@progbits,_ZN9rocsparseL22gebsrmvn_mxn_16_kernelILj52ELj13ELj1EdEEvi20rocsparse_direction_NS_24const_host_device_scalarIT2_EEPKiS6_PKS3_iiS8_S4_PS3_21rocsparse_index_base_b,comdat
	.globl	_ZN9rocsparseL22gebsrmvn_mxn_16_kernelILj52ELj13ELj1EdEEvi20rocsparse_direction_NS_24const_host_device_scalarIT2_EEPKiS6_PKS3_iiS8_S4_PS3_21rocsparse_index_base_b ; -- Begin function _ZN9rocsparseL22gebsrmvn_mxn_16_kernelILj52ELj13ELj1EdEEvi20rocsparse_direction_NS_24const_host_device_scalarIT2_EEPKiS6_PKS3_iiS8_S4_PS3_21rocsparse_index_base_b
	.p2align	8
	.type	_ZN9rocsparseL22gebsrmvn_mxn_16_kernelILj52ELj13ELj1EdEEvi20rocsparse_direction_NS_24const_host_device_scalarIT2_EEPKiS6_PKS3_iiS8_S4_PS3_21rocsparse_index_base_b,@function
_ZN9rocsparseL22gebsrmvn_mxn_16_kernelILj52ELj13ELj1EdEEvi20rocsparse_direction_NS_24const_host_device_scalarIT2_EEPKiS6_PKS3_iiS8_S4_PS3_21rocsparse_index_base_b: ; @_ZN9rocsparseL22gebsrmvn_mxn_16_kernelILj52ELj13ELj1EdEEvi20rocsparse_direction_NS_24const_host_device_scalarIT2_EEPKiS6_PKS3_iiS8_S4_PS3_21rocsparse_index_base_b
; %bb.0:
	s_clause 0x2
	s_load_b64 s[10:11], s[0:1], 0x48
	s_load_b64 s[4:5], s[0:1], 0x8
	;; [unrolled: 1-line block ×3, first 2 shown]
	s_mov_b32 s8, s15
	s_waitcnt lgkmcnt(0)
	s_bitcmp1_b32 s11, 0
	v_dual_mov_b32 v3, s4 :: v_dual_mov_b32 v4, s5
	s_cselect_b32 s6, -1, 0
	s_delay_alu instid0(SALU_CYCLE_1)
	s_and_b32 vcc_lo, exec_lo, s6
	s_xor_b32 s6, s6, -1
	s_cbranch_vccnz .LBB34_2
; %bb.1:
	v_dual_mov_b32 v1, s4 :: v_dual_mov_b32 v2, s5
	flat_load_b64 v[3:4], v[1:2]
.LBB34_2:
	v_dual_mov_b32 v1, s2 :: v_dual_mov_b32 v2, s3
	s_and_not1_b32 vcc_lo, exec_lo, s6
	s_cbranch_vccnz .LBB34_4
; %bb.3:
	v_dual_mov_b32 v1, s2 :: v_dual_mov_b32 v2, s3
	flat_load_b64 v[1:2], v[1:2]
.LBB34_4:
	s_waitcnt vmcnt(0) lgkmcnt(0)
	v_cmp_neq_f64_e32 vcc_lo, 0, v[3:4]
	v_cmp_neq_f64_e64 s2, 1.0, v[1:2]
	s_delay_alu instid0(VALU_DEP_1) | instskip(NEXT) | instid1(SALU_CYCLE_1)
	s_or_b32 s2, vcc_lo, s2
	s_and_saveexec_b32 s3, s2
	s_cbranch_execz .LBB34_24
; %bb.5:
	s_load_b64 s[2:3], s[0:1], 0x10
	s_ashr_i32 s9, s8, 31
	s_delay_alu instid0(SALU_CYCLE_1)
	s_lshl_b64 s[4:5], s[8:9], 2
	s_waitcnt lgkmcnt(0)
	s_add_u32 s2, s2, s4
	s_addc_u32 s3, s3, s5
	s_load_b64 s[12:13], s[2:3], 0x0
	s_waitcnt lgkmcnt(0)
	s_cmp_lt_i32 s12, s13
	s_cbranch_scc1 .LBB34_7
; %bb.6:
	s_mov_b32 s6, 0
	s_mov_b64 s[4:5], 0
	s_branch .LBB34_8
.LBB34_7:
	s_mov_b32 s6, -1
                                        ; implicit-def: $sgpr4_sgpr5
.LBB34_8:
	s_load_b64 s[2:3], s[0:1], 0x40
	v_dual_mov_b32 v6, s5 :: v_dual_mov_b32 v5, s4
	s_and_not1_b32 vcc_lo, exec_lo, s6
	s_cbranch_vccnz .LBB34_13
; %bb.9:
	s_clause 0x1
	s_load_b128 s[4:7], s[0:1], 0x18
	s_load_b64 s[0:1], s[0:1], 0x30
	v_mad_u64_u32 v[5:6], null, s12, 13, v[0:1]
	v_mul_u32_u24_e32 v6, 0x13b2, v0
	s_mul_i32 s9, s10, 13
	s_sub_i32 s11, s12, s10
	v_mov_b32_e32 v8, 0
	s_delay_alu instid0(VALU_DEP_2) | instskip(NEXT) | instid1(VALU_DEP_4)
	v_lshrrev_b32_e32 v11, 16, v6
	v_subrev_nc_u32_e32 v7, s9, v5
	v_mov_b32_e32 v5, 0
	v_mov_b32_e32 v6, 0
	s_sub_i32 s9, s13, s10
	s_set_inst_prefetch_distance 0x1
	s_branch .LBB34_11
	.p2align	6
.LBB34_10:                              ;   in Loop: Header=BB34_11 Depth=1
	s_or_b32 exec_lo, exec_lo, s12
	v_add_nc_u32_e32 v7, 52, v7
	s_add_i32 s11, s11, 4
	s_delay_alu instid0(SALU_CYCLE_1)
	s_cmp_ge_i32 s11, s9
	s_cbranch_scc1 .LBB34_13
.LBB34_11:                              ; =>This Inner Loop Header: Depth=1
	v_add_nc_u32_e32 v9, s11, v11
	s_mov_b32 s12, exec_lo
	s_delay_alu instid0(VALU_DEP_1)
	v_cmpx_gt_i32_e64 s9, v9
	s_cbranch_execz .LBB34_10
; %bb.12:                               ;   in Loop: Header=BB34_11 Depth=1
	v_ashrrev_i32_e32 v10, 31, v9
	v_lshlrev_b64 v[12:13], 3, v[7:8]
	s_delay_alu instid0(VALU_DEP_2) | instskip(SKIP_1) | instid1(VALU_DEP_1)
	v_lshlrev_b64 v[9:10], 2, v[9:10]
	s_waitcnt lgkmcnt(0)
	v_add_co_u32 v9, vcc_lo, s4, v9
	s_delay_alu instid0(VALU_DEP_2) | instskip(NEXT) | instid1(VALU_DEP_4)
	v_add_co_ci_u32_e32 v10, vcc_lo, s5, v10, vcc_lo
	v_add_co_u32 v12, vcc_lo, s6, v12
	v_add_co_ci_u32_e32 v13, vcc_lo, s7, v13, vcc_lo
	global_load_b32 v9, v[9:10], off
	s_waitcnt vmcnt(0)
	v_subrev_nc_u32_e32 v9, s10, v9
	s_delay_alu instid0(VALU_DEP_1) | instskip(NEXT) | instid1(VALU_DEP_1)
	v_ashrrev_i32_e32 v10, 31, v9
	v_lshlrev_b64 v[9:10], 3, v[9:10]
	s_delay_alu instid0(VALU_DEP_1) | instskip(NEXT) | instid1(VALU_DEP_2)
	v_add_co_u32 v9, vcc_lo, s0, v9
	v_add_co_ci_u32_e32 v10, vcc_lo, s1, v10, vcc_lo
	global_load_b64 v[12:13], v[12:13], off
	global_load_b64 v[9:10], v[9:10], off
	s_waitcnt vmcnt(0)
	v_fma_f64 v[5:6], v[12:13], v[9:10], v[5:6]
	s_branch .LBB34_10
.LBB34_13:
	s_set_inst_prefetch_distance 0x2
	v_lshlrev_b32_e32 v7, 3, v0
	s_waitcnt lgkmcnt(0)
	s_mov_b32 s0, exec_lo
	ds_store_b64 v7, v[5:6]
	s_waitcnt lgkmcnt(0)
	s_barrier
	buffer_gl0_inv
	v_cmpx_gt_u32_e32 26, v0
	s_cbranch_execz .LBB34_15
; %bb.14:
	ds_load_2addr_b64 v[8:11], v7 offset1:26
	s_waitcnt lgkmcnt(0)
	v_add_f64 v[8:9], v[10:11], v[8:9]
	ds_store_b64 v7, v[8:9]
.LBB34_15:
	s_or_b32 exec_lo, exec_lo, s0
	v_cmp_gt_u32_e32 vcc_lo, 13, v0
	s_waitcnt lgkmcnt(0)
	s_barrier
	buffer_gl0_inv
	s_and_saveexec_b32 s0, vcc_lo
	s_cbranch_execz .LBB34_17
; %bb.16:
	ds_load_2addr_b64 v[8:11], v7 offset1:13
	s_waitcnt lgkmcnt(0)
	v_add_f64 v[8:9], v[10:11], v[8:9]
	ds_store_b64 v7, v[8:9]
.LBB34_17:
	s_or_b32 exec_lo, exec_lo, s0
	s_waitcnt lgkmcnt(0)
	s_barrier
	buffer_gl0_inv
	s_and_saveexec_b32 s0, vcc_lo
	s_cbranch_execz .LBB34_19
; %bb.18:
	ds_load_b64 v[5:6], v7
.LBB34_19:
	s_or_b32 exec_lo, exec_lo, s0
	s_delay_alu instid0(SALU_CYCLE_1)
	s_and_b32 exec_lo, exec_lo, vcc_lo
	s_cbranch_execz .LBB34_24
; %bb.20:
	s_waitcnt lgkmcnt(0)
	v_mul_f64 v[3:4], v[3:4], v[5:6]
	s_mov_b32 s0, exec_lo
	v_cmpx_eq_f64_e32 0, v[1:2]
	s_xor_b32 s0, exec_lo, s0
	s_cbranch_execz .LBB34_22
; %bb.21:
	v_mad_u64_u32 v[1:2], null, s8, 13, v[0:1]
	v_mov_b32_e32 v2, 0
	s_delay_alu instid0(VALU_DEP_1) | instskip(NEXT) | instid1(VALU_DEP_1)
	v_lshlrev_b64 v[0:1], 3, v[1:2]
	v_add_co_u32 v0, vcc_lo, s2, v0
	s_delay_alu instid0(VALU_DEP_2)
	v_add_co_ci_u32_e32 v1, vcc_lo, s3, v1, vcc_lo
	global_store_b64 v[0:1], v[3:4], off
                                        ; implicit-def: $vgpr0
                                        ; implicit-def: $vgpr1_vgpr2
                                        ; implicit-def: $vgpr3_vgpr4
.LBB34_22:
	s_and_not1_saveexec_b32 s0, s0
	s_cbranch_execz .LBB34_24
; %bb.23:
	v_mad_u64_u32 v[5:6], null, s8, 13, v[0:1]
	v_mov_b32_e32 v6, 0
	s_delay_alu instid0(VALU_DEP_1) | instskip(NEXT) | instid1(VALU_DEP_1)
	v_lshlrev_b64 v[5:6], 3, v[5:6]
	v_add_co_u32 v5, vcc_lo, s2, v5
	s_delay_alu instid0(VALU_DEP_2)
	v_add_co_ci_u32_e32 v6, vcc_lo, s3, v6, vcc_lo
	global_load_b64 v[7:8], v[5:6], off
	s_waitcnt vmcnt(0)
	v_fma_f64 v[0:1], v[1:2], v[7:8], v[3:4]
	global_store_b64 v[5:6], v[0:1], off
.LBB34_24:
	s_nop 0
	s_sendmsg sendmsg(MSG_DEALLOC_VGPRS)
	s_endpgm
	.section	.rodata,"a",@progbits
	.p2align	6, 0x0
	.amdhsa_kernel _ZN9rocsparseL22gebsrmvn_mxn_16_kernelILj52ELj13ELj1EdEEvi20rocsparse_direction_NS_24const_host_device_scalarIT2_EEPKiS6_PKS3_iiS8_S4_PS3_21rocsparse_index_base_b
		.amdhsa_group_segment_fixed_size 416
		.amdhsa_private_segment_fixed_size 0
		.amdhsa_kernarg_size 80
		.amdhsa_user_sgpr_count 15
		.amdhsa_user_sgpr_dispatch_ptr 0
		.amdhsa_user_sgpr_queue_ptr 0
		.amdhsa_user_sgpr_kernarg_segment_ptr 1
		.amdhsa_user_sgpr_dispatch_id 0
		.amdhsa_user_sgpr_private_segment_size 0
		.amdhsa_wavefront_size32 1
		.amdhsa_uses_dynamic_stack 0
		.amdhsa_enable_private_segment 0
		.amdhsa_system_sgpr_workgroup_id_x 1
		.amdhsa_system_sgpr_workgroup_id_y 0
		.amdhsa_system_sgpr_workgroup_id_z 0
		.amdhsa_system_sgpr_workgroup_info 0
		.amdhsa_system_vgpr_workitem_id 0
		.amdhsa_next_free_vgpr 14
		.amdhsa_next_free_sgpr 16
		.amdhsa_reserve_vcc 1
		.amdhsa_float_round_mode_32 0
		.amdhsa_float_round_mode_16_64 0
		.amdhsa_float_denorm_mode_32 3
		.amdhsa_float_denorm_mode_16_64 3
		.amdhsa_dx10_clamp 1
		.amdhsa_ieee_mode 1
		.amdhsa_fp16_overflow 0
		.amdhsa_workgroup_processor_mode 1
		.amdhsa_memory_ordered 1
		.amdhsa_forward_progress 0
		.amdhsa_shared_vgpr_count 0
		.amdhsa_exception_fp_ieee_invalid_op 0
		.amdhsa_exception_fp_denorm_src 0
		.amdhsa_exception_fp_ieee_div_zero 0
		.amdhsa_exception_fp_ieee_overflow 0
		.amdhsa_exception_fp_ieee_underflow 0
		.amdhsa_exception_fp_ieee_inexact 0
		.amdhsa_exception_int_div_zero 0
	.end_amdhsa_kernel
	.section	.text._ZN9rocsparseL22gebsrmvn_mxn_16_kernelILj52ELj13ELj1EdEEvi20rocsparse_direction_NS_24const_host_device_scalarIT2_EEPKiS6_PKS3_iiS8_S4_PS3_21rocsparse_index_base_b,"axG",@progbits,_ZN9rocsparseL22gebsrmvn_mxn_16_kernelILj52ELj13ELj1EdEEvi20rocsparse_direction_NS_24const_host_device_scalarIT2_EEPKiS6_PKS3_iiS8_S4_PS3_21rocsparse_index_base_b,comdat
.Lfunc_end34:
	.size	_ZN9rocsparseL22gebsrmvn_mxn_16_kernelILj52ELj13ELj1EdEEvi20rocsparse_direction_NS_24const_host_device_scalarIT2_EEPKiS6_PKS3_iiS8_S4_PS3_21rocsparse_index_base_b, .Lfunc_end34-_ZN9rocsparseL22gebsrmvn_mxn_16_kernelILj52ELj13ELj1EdEEvi20rocsparse_direction_NS_24const_host_device_scalarIT2_EEPKiS6_PKS3_iiS8_S4_PS3_21rocsparse_index_base_b
                                        ; -- End function
	.section	.AMDGPU.csdata,"",@progbits
; Kernel info:
; codeLenInByte = 856
; NumSgprs: 18
; NumVgprs: 14
; ScratchSize: 0
; MemoryBound: 0
; FloatMode: 240
; IeeeMode: 1
; LDSByteSize: 416 bytes/workgroup (compile time only)
; SGPRBlocks: 2
; VGPRBlocks: 1
; NumSGPRsForWavesPerEU: 18
; NumVGPRsForWavesPerEU: 14
; Occupancy: 16
; WaveLimiterHint : 1
; COMPUTE_PGM_RSRC2:SCRATCH_EN: 0
; COMPUTE_PGM_RSRC2:USER_SGPR: 15
; COMPUTE_PGM_RSRC2:TRAP_HANDLER: 0
; COMPUTE_PGM_RSRC2:TGID_X_EN: 1
; COMPUTE_PGM_RSRC2:TGID_Y_EN: 0
; COMPUTE_PGM_RSRC2:TGID_Z_EN: 0
; COMPUTE_PGM_RSRC2:TIDIG_COMP_CNT: 0
	.section	.text._ZN9rocsparseL22gebsrmvn_mxn_16_kernelILj52ELj13ELj2EdEEvi20rocsparse_direction_NS_24const_host_device_scalarIT2_EEPKiS6_PKS3_iiS8_S4_PS3_21rocsparse_index_base_b,"axG",@progbits,_ZN9rocsparseL22gebsrmvn_mxn_16_kernelILj52ELj13ELj2EdEEvi20rocsparse_direction_NS_24const_host_device_scalarIT2_EEPKiS6_PKS3_iiS8_S4_PS3_21rocsparse_index_base_b,comdat
	.globl	_ZN9rocsparseL22gebsrmvn_mxn_16_kernelILj52ELj13ELj2EdEEvi20rocsparse_direction_NS_24const_host_device_scalarIT2_EEPKiS6_PKS3_iiS8_S4_PS3_21rocsparse_index_base_b ; -- Begin function _ZN9rocsparseL22gebsrmvn_mxn_16_kernelILj52ELj13ELj2EdEEvi20rocsparse_direction_NS_24const_host_device_scalarIT2_EEPKiS6_PKS3_iiS8_S4_PS3_21rocsparse_index_base_b
	.p2align	8
	.type	_ZN9rocsparseL22gebsrmvn_mxn_16_kernelILj52ELj13ELj2EdEEvi20rocsparse_direction_NS_24const_host_device_scalarIT2_EEPKiS6_PKS3_iiS8_S4_PS3_21rocsparse_index_base_b,@function
_ZN9rocsparseL22gebsrmvn_mxn_16_kernelILj52ELj13ELj2EdEEvi20rocsparse_direction_NS_24const_host_device_scalarIT2_EEPKiS6_PKS3_iiS8_S4_PS3_21rocsparse_index_base_b: ; @_ZN9rocsparseL22gebsrmvn_mxn_16_kernelILj52ELj13ELj2EdEEvi20rocsparse_direction_NS_24const_host_device_scalarIT2_EEPKiS6_PKS3_iiS8_S4_PS3_21rocsparse_index_base_b
; %bb.0:
	s_clause 0x2
	s_load_b64 s[10:11], s[0:1], 0x48
	s_load_b64 s[4:5], s[0:1], 0x8
	;; [unrolled: 1-line block ×3, first 2 shown]
	s_mov_b32 s8, s15
	s_waitcnt lgkmcnt(0)
	s_bitcmp1_b32 s11, 0
	v_dual_mov_b32 v3, s4 :: v_dual_mov_b32 v4, s5
	s_cselect_b32 s6, -1, 0
	s_delay_alu instid0(SALU_CYCLE_1)
	s_and_b32 vcc_lo, exec_lo, s6
	s_xor_b32 s6, s6, -1
	s_cbranch_vccnz .LBB35_2
; %bb.1:
	v_dual_mov_b32 v1, s4 :: v_dual_mov_b32 v2, s5
	flat_load_b64 v[3:4], v[1:2]
.LBB35_2:
	v_dual_mov_b32 v1, s2 :: v_dual_mov_b32 v2, s3
	s_and_not1_b32 vcc_lo, exec_lo, s6
	s_cbranch_vccnz .LBB35_4
; %bb.3:
	v_dual_mov_b32 v1, s2 :: v_dual_mov_b32 v2, s3
	flat_load_b64 v[1:2], v[1:2]
.LBB35_4:
	s_waitcnt vmcnt(0) lgkmcnt(0)
	v_cmp_neq_f64_e32 vcc_lo, 0, v[3:4]
	v_cmp_neq_f64_e64 s2, 1.0, v[1:2]
	s_delay_alu instid0(VALU_DEP_1) | instskip(NEXT) | instid1(SALU_CYCLE_1)
	s_or_b32 s2, vcc_lo, s2
	s_and_saveexec_b32 s3, s2
	s_cbranch_execz .LBB35_31
; %bb.5:
	s_clause 0x1
	s_load_b32 s4, s[0:1], 0x4
	s_load_b64 s[2:3], s[0:1], 0x10
	v_and_b32_e32 v11, 1, v0
	s_delay_alu instid0(VALU_DEP_1) | instskip(SKIP_3) | instid1(SALU_CYCLE_1)
	v_mov_b32_e32 v12, v11
	s_waitcnt lgkmcnt(0)
	s_cmp_lg_u32 s4, 1
	s_cselect_b32 s11, -1, 0
	s_and_b32 vcc_lo, exec_lo, s11
	s_cbranch_vccnz .LBB35_7
; %bb.6:
	v_mul_u32_u24_e32 v5, 0x13b2, v0
	s_delay_alu instid0(VALU_DEP_1)
	v_bfe_u32 v12, v5, 16, 1
.LBB35_7:
	s_ashr_i32 s9, s8, 31
	v_mov_b32_e32 v5, 0
	s_lshl_b64 s[4:5], s[8:9], 2
	v_mov_b32_e32 v6, 0
	s_add_u32 s2, s2, s4
	s_addc_u32 s3, s3, s5
	s_load_b64 s[12:13], s[2:3], 0x0
	s_load_b64 s[2:3], s[0:1], 0x40
	s_waitcnt lgkmcnt(0)
	s_cmp_ge_i32 s12, s13
	s_cbranch_scc1 .LBB35_12
; %bb.8:
	s_clause 0x1
	s_load_b128 s[4:7], s[0:1], 0x18
	s_load_b64 s[0:1], s[0:1], 0x30
	v_mad_u64_u32 v[5:6], null, s12, 26, v[0:1]
	v_mul_u32_u24_e32 v6, 0x9d9, v0
	s_mul_i32 s9, s10, 26
	s_sub_i32 s12, s12, s10
	v_mov_b32_e32 v8, 0
	s_delay_alu instid0(VALU_DEP_2) | instskip(NEXT) | instid1(VALU_DEP_4)
	v_lshrrev_b32_e32 v13, 16, v6
	v_subrev_nc_u32_e32 v7, s9, v5
	v_mov_b32_e32 v5, 0
	v_mov_b32_e32 v6, 0
	s_sub_i32 s9, s13, s10
	s_set_inst_prefetch_distance 0x1
	s_branch .LBB35_10
	.p2align	6
.LBB35_9:                               ;   in Loop: Header=BB35_10 Depth=1
	s_or_b32 exec_lo, exec_lo, s13
	v_add_nc_u32_e32 v7, 52, v7
	s_add_i32 s12, s12, 2
	s_delay_alu instid0(SALU_CYCLE_1)
	s_cmp_ge_i32 s12, s9
	s_cbranch_scc1 .LBB35_12
.LBB35_10:                              ; =>This Inner Loop Header: Depth=1
	v_add_nc_u32_e32 v9, s12, v13
	s_mov_b32 s13, exec_lo
	s_delay_alu instid0(VALU_DEP_1)
	v_cmpx_gt_i32_e64 s9, v9
	s_cbranch_execz .LBB35_9
; %bb.11:                               ;   in Loop: Header=BB35_10 Depth=1
	v_ashrrev_i32_e32 v10, 31, v9
	v_lshlrev_b64 v[14:15], 3, v[7:8]
	s_delay_alu instid0(VALU_DEP_2) | instskip(SKIP_1) | instid1(VALU_DEP_1)
	v_lshlrev_b64 v[9:10], 2, v[9:10]
	s_waitcnt lgkmcnt(0)
	v_add_co_u32 v9, vcc_lo, s4, v9
	s_delay_alu instid0(VALU_DEP_2) | instskip(NEXT) | instid1(VALU_DEP_4)
	v_add_co_ci_u32_e32 v10, vcc_lo, s5, v10, vcc_lo
	v_add_co_u32 v14, vcc_lo, s6, v14
	v_add_co_ci_u32_e32 v15, vcc_lo, s7, v15, vcc_lo
	global_load_b32 v9, v[9:10], off
	s_waitcnt vmcnt(0)
	v_subrev_nc_u32_e32 v9, s10, v9
	s_delay_alu instid0(VALU_DEP_1) | instskip(NEXT) | instid1(VALU_DEP_1)
	v_lshl_or_b32 v9, v9, 1, v12
	v_ashrrev_i32_e32 v10, 31, v9
	s_delay_alu instid0(VALU_DEP_1) | instskip(NEXT) | instid1(VALU_DEP_1)
	v_lshlrev_b64 v[9:10], 3, v[9:10]
	v_add_co_u32 v9, vcc_lo, s0, v9
	s_delay_alu instid0(VALU_DEP_2)
	v_add_co_ci_u32_e32 v10, vcc_lo, s1, v10, vcc_lo
	global_load_b64 v[14:15], v[14:15], off
	global_load_b64 v[9:10], v[9:10], off
	s_waitcnt vmcnt(0)
	v_fma_f64 v[5:6], v[14:15], v[9:10], v[5:6]
	s_branch .LBB35_9
.LBB35_12:
	s_set_inst_prefetch_distance 0x2
	v_lshlrev_b32_e32 v9, 3, v0
	s_waitcnt lgkmcnt(0)
	s_mov_b32 s0, exec_lo
	ds_store_b64 v9, v[5:6]
	s_waitcnt lgkmcnt(0)
	s_barrier
	buffer_gl0_inv
	v_cmpx_gt_u32_e32 26, v0
	s_cbranch_execz .LBB35_14
; %bb.13:
	ds_load_2addr_b64 v[12:15], v9 offset1:26
	s_waitcnt lgkmcnt(0)
	v_add_f64 v[7:8], v[14:15], v[12:13]
	ds_store_b64 v9, v[7:8]
.LBB35_14:
	s_or_b32 exec_lo, exec_lo, s0
	s_delay_alu instid0(SALU_CYCLE_1)
	s_and_b32 vcc_lo, exec_lo, s11
	s_waitcnt lgkmcnt(0)
	s_barrier
	buffer_gl0_inv
	s_cbranch_vccz .LBB35_20
; %bb.15:
	s_mov_b32 s0, exec_lo
	v_cmpx_eq_u32_e32 0, v11
	s_cbranch_execz .LBB35_17
; %bb.16:
	ds_load_2addr_b64 v[10:13], v9 offset1:1
	s_waitcnt lgkmcnt(0)
	v_add_f64 v[7:8], v[12:13], v[10:11]
	ds_store_b64 v9, v[7:8]
.LBB35_17:
	s_or_b32 exec_lo, exec_lo, s0
	v_dual_mov_b32 v8, v6 :: v_dual_mov_b32 v7, v5
	s_mov_b32 s0, exec_lo
	s_waitcnt lgkmcnt(0)
	s_barrier
	buffer_gl0_inv
	v_cmpx_gt_u32_e32 13, v0
	s_cbranch_execz .LBB35_19
; %bb.18:
	v_lshl_add_u32 v7, v0, 3, v9
	ds_load_b64 v[7:8], v7
.LBB35_19:
	s_or_b32 exec_lo, exec_lo, s0
	s_branch .LBB35_26
.LBB35_20:
                                        ; implicit-def: $vgpr7_vgpr8
	s_cbranch_execz .LBB35_26
; %bb.21:
	s_mov_b32 s0, exec_lo
	v_cmpx_lt_u32_e32 12, v0
	s_xor_b32 s0, exec_lo, s0
	s_cbranch_execz .LBB35_23
; %bb.22:
	s_waitcnt lgkmcnt(0)
	buffer_gl0_inv
                                        ; implicit-def: $vgpr9
.LBB35_23:
	s_and_not1_saveexec_b32 s0, s0
	s_cbranch_execz .LBB35_25
; %bb.24:
	s_waitcnt lgkmcnt(0)
	ds_load_2addr_b64 v[5:8], v9 offset1:13
	s_waitcnt lgkmcnt(0)
	v_add_f64 v[5:6], v[7:8], v[5:6]
	ds_store_b64 v9, v[5:6]
	s_waitcnt lgkmcnt(0)
	buffer_gl0_inv
	ds_load_b64 v[5:6], v9
.LBB35_25:
	s_or_b32 exec_lo, exec_lo, s0
	s_waitcnt lgkmcnt(0)
	v_dual_mov_b32 v8, v6 :: v_dual_mov_b32 v7, v5
.LBB35_26:
	v_cmp_gt_u32_e32 vcc_lo, 13, v0
	s_and_b32 exec_lo, exec_lo, vcc_lo
	s_cbranch_execz .LBB35_31
; %bb.27:
	s_waitcnt lgkmcnt(0)
	v_mul_f64 v[3:4], v[3:4], v[7:8]
	s_mov_b32 s0, exec_lo
	v_cmpx_eq_f64_e32 0, v[1:2]
	s_xor_b32 s0, exec_lo, s0
	s_cbranch_execz .LBB35_29
; %bb.28:
	v_mad_u64_u32 v[1:2], null, s8, 13, v[0:1]
	v_mov_b32_e32 v2, 0
	s_delay_alu instid0(VALU_DEP_1) | instskip(NEXT) | instid1(VALU_DEP_1)
	v_lshlrev_b64 v[0:1], 3, v[1:2]
	v_add_co_u32 v0, vcc_lo, s2, v0
	s_delay_alu instid0(VALU_DEP_2)
	v_add_co_ci_u32_e32 v1, vcc_lo, s3, v1, vcc_lo
	global_store_b64 v[0:1], v[3:4], off
                                        ; implicit-def: $vgpr0
                                        ; implicit-def: $vgpr1_vgpr2
                                        ; implicit-def: $vgpr3_vgpr4
.LBB35_29:
	s_and_not1_saveexec_b32 s0, s0
	s_cbranch_execz .LBB35_31
; %bb.30:
	v_mad_u64_u32 v[5:6], null, s8, 13, v[0:1]
	v_mov_b32_e32 v6, 0
	s_delay_alu instid0(VALU_DEP_1) | instskip(NEXT) | instid1(VALU_DEP_1)
	v_lshlrev_b64 v[5:6], 3, v[5:6]
	v_add_co_u32 v5, vcc_lo, s2, v5
	s_delay_alu instid0(VALU_DEP_2)
	v_add_co_ci_u32_e32 v6, vcc_lo, s3, v6, vcc_lo
	global_load_b64 v[7:8], v[5:6], off
	s_waitcnt vmcnt(0)
	v_fma_f64 v[0:1], v[1:2], v[7:8], v[3:4]
	global_store_b64 v[5:6], v[0:1], off
.LBB35_31:
	s_nop 0
	s_sendmsg sendmsg(MSG_DEALLOC_VGPRS)
	s_endpgm
	.section	.rodata,"a",@progbits
	.p2align	6, 0x0
	.amdhsa_kernel _ZN9rocsparseL22gebsrmvn_mxn_16_kernelILj52ELj13ELj2EdEEvi20rocsparse_direction_NS_24const_host_device_scalarIT2_EEPKiS6_PKS3_iiS8_S4_PS3_21rocsparse_index_base_b
		.amdhsa_group_segment_fixed_size 416
		.amdhsa_private_segment_fixed_size 0
		.amdhsa_kernarg_size 80
		.amdhsa_user_sgpr_count 15
		.amdhsa_user_sgpr_dispatch_ptr 0
		.amdhsa_user_sgpr_queue_ptr 0
		.amdhsa_user_sgpr_kernarg_segment_ptr 1
		.amdhsa_user_sgpr_dispatch_id 0
		.amdhsa_user_sgpr_private_segment_size 0
		.amdhsa_wavefront_size32 1
		.amdhsa_uses_dynamic_stack 0
		.amdhsa_enable_private_segment 0
		.amdhsa_system_sgpr_workgroup_id_x 1
		.amdhsa_system_sgpr_workgroup_id_y 0
		.amdhsa_system_sgpr_workgroup_id_z 0
		.amdhsa_system_sgpr_workgroup_info 0
		.amdhsa_system_vgpr_workitem_id 0
		.amdhsa_next_free_vgpr 16
		.amdhsa_next_free_sgpr 16
		.amdhsa_reserve_vcc 1
		.amdhsa_float_round_mode_32 0
		.amdhsa_float_round_mode_16_64 0
		.amdhsa_float_denorm_mode_32 3
		.amdhsa_float_denorm_mode_16_64 3
		.amdhsa_dx10_clamp 1
		.amdhsa_ieee_mode 1
		.amdhsa_fp16_overflow 0
		.amdhsa_workgroup_processor_mode 1
		.amdhsa_memory_ordered 1
		.amdhsa_forward_progress 0
		.amdhsa_shared_vgpr_count 0
		.amdhsa_exception_fp_ieee_invalid_op 0
		.amdhsa_exception_fp_denorm_src 0
		.amdhsa_exception_fp_ieee_div_zero 0
		.amdhsa_exception_fp_ieee_overflow 0
		.amdhsa_exception_fp_ieee_underflow 0
		.amdhsa_exception_fp_ieee_inexact 0
		.amdhsa_exception_int_div_zero 0
	.end_amdhsa_kernel
	.section	.text._ZN9rocsparseL22gebsrmvn_mxn_16_kernelILj52ELj13ELj2EdEEvi20rocsparse_direction_NS_24const_host_device_scalarIT2_EEPKiS6_PKS3_iiS8_S4_PS3_21rocsparse_index_base_b,"axG",@progbits,_ZN9rocsparseL22gebsrmvn_mxn_16_kernelILj52ELj13ELj2EdEEvi20rocsparse_direction_NS_24const_host_device_scalarIT2_EEPKiS6_PKS3_iiS8_S4_PS3_21rocsparse_index_base_b,comdat
.Lfunc_end35:
	.size	_ZN9rocsparseL22gebsrmvn_mxn_16_kernelILj52ELj13ELj2EdEEvi20rocsparse_direction_NS_24const_host_device_scalarIT2_EEPKiS6_PKS3_iiS8_S4_PS3_21rocsparse_index_base_b, .Lfunc_end35-_ZN9rocsparseL22gebsrmvn_mxn_16_kernelILj52ELj13ELj2EdEEvi20rocsparse_direction_NS_24const_host_device_scalarIT2_EEPKiS6_PKS3_iiS8_S4_PS3_21rocsparse_index_base_b
                                        ; -- End function
	.section	.AMDGPU.csdata,"",@progbits
; Kernel info:
; codeLenInByte = 1044
; NumSgprs: 18
; NumVgprs: 16
; ScratchSize: 0
; MemoryBound: 0
; FloatMode: 240
; IeeeMode: 1
; LDSByteSize: 416 bytes/workgroup (compile time only)
; SGPRBlocks: 2
; VGPRBlocks: 1
; NumSGPRsForWavesPerEU: 18
; NumVGPRsForWavesPerEU: 16
; Occupancy: 16
; WaveLimiterHint : 1
; COMPUTE_PGM_RSRC2:SCRATCH_EN: 0
; COMPUTE_PGM_RSRC2:USER_SGPR: 15
; COMPUTE_PGM_RSRC2:TRAP_HANDLER: 0
; COMPUTE_PGM_RSRC2:TGID_X_EN: 1
; COMPUTE_PGM_RSRC2:TGID_Y_EN: 0
; COMPUTE_PGM_RSRC2:TGID_Z_EN: 0
; COMPUTE_PGM_RSRC2:TIDIG_COMP_CNT: 0
	.section	.text._ZN9rocsparseL22gebsrmvn_mxn_16_kernelILj39ELj13ELj3EdEEvi20rocsparse_direction_NS_24const_host_device_scalarIT2_EEPKiS6_PKS3_iiS8_S4_PS3_21rocsparse_index_base_b,"axG",@progbits,_ZN9rocsparseL22gebsrmvn_mxn_16_kernelILj39ELj13ELj3EdEEvi20rocsparse_direction_NS_24const_host_device_scalarIT2_EEPKiS6_PKS3_iiS8_S4_PS3_21rocsparse_index_base_b,comdat
	.globl	_ZN9rocsparseL22gebsrmvn_mxn_16_kernelILj39ELj13ELj3EdEEvi20rocsparse_direction_NS_24const_host_device_scalarIT2_EEPKiS6_PKS3_iiS8_S4_PS3_21rocsparse_index_base_b ; -- Begin function _ZN9rocsparseL22gebsrmvn_mxn_16_kernelILj39ELj13ELj3EdEEvi20rocsparse_direction_NS_24const_host_device_scalarIT2_EEPKiS6_PKS3_iiS8_S4_PS3_21rocsparse_index_base_b
	.p2align	8
	.type	_ZN9rocsparseL22gebsrmvn_mxn_16_kernelILj39ELj13ELj3EdEEvi20rocsparse_direction_NS_24const_host_device_scalarIT2_EEPKiS6_PKS3_iiS8_S4_PS3_21rocsparse_index_base_b,@function
_ZN9rocsparseL22gebsrmvn_mxn_16_kernelILj39ELj13ELj3EdEEvi20rocsparse_direction_NS_24const_host_device_scalarIT2_EEPKiS6_PKS3_iiS8_S4_PS3_21rocsparse_index_base_b: ; @_ZN9rocsparseL22gebsrmvn_mxn_16_kernelILj39ELj13ELj3EdEEvi20rocsparse_direction_NS_24const_host_device_scalarIT2_EEPKiS6_PKS3_iiS8_S4_PS3_21rocsparse_index_base_b
; %bb.0:
	s_clause 0x2
	s_load_b64 s[10:11], s[0:1], 0x48
	s_load_b64 s[4:5], s[0:1], 0x8
	;; [unrolled: 1-line block ×3, first 2 shown]
	s_mov_b32 s8, s15
	s_waitcnt lgkmcnt(0)
	s_bitcmp1_b32 s11, 0
	v_dual_mov_b32 v3, s4 :: v_dual_mov_b32 v4, s5
	s_cselect_b32 s6, -1, 0
	s_delay_alu instid0(SALU_CYCLE_1)
	s_and_b32 vcc_lo, exec_lo, s6
	s_xor_b32 s6, s6, -1
	s_cbranch_vccnz .LBB36_2
; %bb.1:
	v_dual_mov_b32 v1, s4 :: v_dual_mov_b32 v2, s5
	flat_load_b64 v[3:4], v[1:2]
.LBB36_2:
	v_dual_mov_b32 v1, s2 :: v_dual_mov_b32 v2, s3
	s_and_not1_b32 vcc_lo, exec_lo, s6
	s_cbranch_vccnz .LBB36_4
; %bb.3:
	v_dual_mov_b32 v1, s2 :: v_dual_mov_b32 v2, s3
	flat_load_b64 v[1:2], v[1:2]
.LBB36_4:
	s_waitcnt vmcnt(0) lgkmcnt(0)
	v_cmp_neq_f64_e32 vcc_lo, 0, v[3:4]
	v_cmp_neq_f64_e64 s2, 1.0, v[1:2]
	s_delay_alu instid0(VALU_DEP_1) | instskip(NEXT) | instid1(SALU_CYCLE_1)
	s_or_b32 s2, vcc_lo, s2
	s_and_saveexec_b32 s3, s2
	s_cbranch_execz .LBB36_33
; %bb.5:
	v_mul_u32_u24_e32 v5, 0x5556, v0
	s_clause 0x1
	s_load_b32 s4, s[0:1], 0x4
	s_load_b64 s[2:3], s[0:1], 0x10
	s_delay_alu instid0(VALU_DEP_1) | instskip(NEXT) | instid1(VALU_DEP_1)
	v_lshrrev_b32_e32 v5, 16, v5
	v_mul_lo_u16 v5, v5, 3
	s_delay_alu instid0(VALU_DEP_1) | instskip(NEXT) | instid1(VALU_DEP_1)
	v_sub_nc_u16 v5, v0, v5
	v_and_b32_e32 v12, 0xffff, v5
	s_waitcnt lgkmcnt(0)
	s_cmp_lg_u32 s4, 1
	v_and_b32_e32 v8, 0xffff, v0
	s_cselect_b32 s11, -1, 0
	v_mov_b32_e32 v7, v12
	s_and_b32 vcc_lo, exec_lo, s11
	s_cbranch_vccnz .LBB36_7
; %bb.6:
	v_mul_u32_u24_e32 v5, 0x13b2, v8
	s_delay_alu instid0(VALU_DEP_1) | instskip(NEXT) | instid1(VALU_DEP_1)
	v_lshrrev_b32_e32 v5, 16, v5
	v_mul_lo_u16 v6, 0x56, v5
	s_delay_alu instid0(VALU_DEP_1) | instskip(NEXT) | instid1(VALU_DEP_1)
	v_lshrrev_b16 v6, 8, v6
	v_mul_lo_u16 v6, v6, 3
	s_delay_alu instid0(VALU_DEP_1) | instskip(NEXT) | instid1(VALU_DEP_1)
	v_sub_nc_u16 v5, v5, v6
	v_and_b32_e32 v7, 0xff, v5
.LBB36_7:
	s_ashr_i32 s9, s8, 31
	v_mov_b32_e32 v5, 0
	s_lshl_b64 s[4:5], s[8:9], 2
	v_mov_b32_e32 v6, 0
	s_add_u32 s2, s2, s4
	s_addc_u32 s3, s3, s5
	s_load_b64 s[12:13], s[2:3], 0x0
	s_load_b64 s[2:3], s[0:1], 0x40
	s_waitcnt lgkmcnt(0)
	s_cmp_ge_i32 s12, s13
	s_cbranch_scc1 .LBB36_12
; %bb.8:
	s_clause 0x1
	s_load_b128 s[4:7], s[0:1], 0x18
	s_load_b64 s[0:1], s[0:1], 0x30
	v_mad_u64_u32 v[5:6], null, s12, 39, v[0:1]
	v_mul_u32_u24_e32 v6, 0x691, v8
	s_mul_i32 s9, s10, 39
	s_sub_i32 s12, s12, s10
	v_mov_b32_e32 v9, 0
	s_delay_alu instid0(VALU_DEP_2) | instskip(NEXT) | instid1(VALU_DEP_4)
	v_lshrrev_b32_e32 v13, 16, v6
	v_subrev_nc_u32_e32 v8, s9, v5
	v_mov_b32_e32 v5, 0
	v_mov_b32_e32 v6, 0
	s_sub_i32 s9, s13, s10
	s_set_inst_prefetch_distance 0x1
	s_branch .LBB36_10
	.p2align	6
.LBB36_9:                               ;   in Loop: Header=BB36_10 Depth=1
	s_or_b32 exec_lo, exec_lo, s13
	v_add_nc_u32_e32 v8, 39, v8
	s_add_i32 s12, s12, 1
	s_delay_alu instid0(SALU_CYCLE_1)
	s_cmp_ge_i32 s12, s9
	s_cbranch_scc1 .LBB36_12
.LBB36_10:                              ; =>This Inner Loop Header: Depth=1
	v_add_nc_u32_e32 v10, s12, v13
	s_mov_b32 s13, exec_lo
	s_delay_alu instid0(VALU_DEP_1)
	v_cmpx_gt_i32_e64 s9, v10
	s_cbranch_execz .LBB36_9
; %bb.11:                               ;   in Loop: Header=BB36_10 Depth=1
	v_ashrrev_i32_e32 v11, 31, v10
	s_delay_alu instid0(VALU_DEP_1) | instskip(SKIP_1) | instid1(VALU_DEP_1)
	v_lshlrev_b64 v[10:11], 2, v[10:11]
	s_waitcnt lgkmcnt(0)
	v_add_co_u32 v10, vcc_lo, s4, v10
	s_delay_alu instid0(VALU_DEP_2) | instskip(SKIP_3) | instid1(VALU_DEP_1)
	v_add_co_ci_u32_e32 v11, vcc_lo, s5, v11, vcc_lo
	global_load_b32 v10, v[10:11], off
	s_waitcnt vmcnt(0)
	v_subrev_nc_u32_e32 v14, s10, v10
	v_mad_u64_u32 v[10:11], null, v14, 3, v[7:8]
	v_lshlrev_b64 v[14:15], 3, v[8:9]
	s_delay_alu instid0(VALU_DEP_1) | instskip(NEXT) | instid1(VALU_DEP_3)
	v_add_co_u32 v14, vcc_lo, s6, v14
	v_ashrrev_i32_e32 v11, 31, v10
	s_delay_alu instid0(VALU_DEP_3) | instskip(NEXT) | instid1(VALU_DEP_2)
	v_add_co_ci_u32_e32 v15, vcc_lo, s7, v15, vcc_lo
	v_lshlrev_b64 v[10:11], 3, v[10:11]
	s_delay_alu instid0(VALU_DEP_1) | instskip(NEXT) | instid1(VALU_DEP_2)
	v_add_co_u32 v10, vcc_lo, s0, v10
	v_add_co_ci_u32_e32 v11, vcc_lo, s1, v11, vcc_lo
	global_load_b64 v[14:15], v[14:15], off
	global_load_b64 v[10:11], v[10:11], off
	s_waitcnt vmcnt(0)
	v_fma_f64 v[5:6], v[14:15], v[10:11], v[5:6]
	s_branch .LBB36_9
.LBB36_12:
	s_set_inst_prefetch_distance 0x2
	v_lshlrev_b32_e32 v9, 3, v0
	s_and_b32 vcc_lo, exec_lo, s11
	ds_store_b64 v9, v[5:6]
	s_waitcnt lgkmcnt(0)
	s_barrier
	buffer_gl0_inv
	s_cbranch_vccz .LBB36_20
; %bb.13:
	v_cmp_eq_u16_e32 vcc_lo, 0, v12
	s_and_saveexec_b32 s0, vcc_lo
	s_cbranch_execz .LBB36_15
; %bb.14:
	ds_load_2addr_b64 v[10:13], v9 offset1:2
	s_waitcnt lgkmcnt(0)
	v_add_f64 v[7:8], v[12:13], v[10:11]
	ds_store_b64 v9, v[7:8]
.LBB36_15:
	s_or_b32 exec_lo, exec_lo, s0
	s_waitcnt lgkmcnt(0)
	s_barrier
	buffer_gl0_inv
	s_and_saveexec_b32 s0, vcc_lo
	s_cbranch_execz .LBB36_17
; %bb.16:
	ds_load_2addr_b64 v[10:13], v9 offset1:1
	s_waitcnt lgkmcnt(0)
	v_add_f64 v[7:8], v[12:13], v[10:11]
	ds_store_b64 v9, v[7:8]
.LBB36_17:
	s_or_b32 exec_lo, exec_lo, s0
	v_dual_mov_b32 v8, v6 :: v_dual_mov_b32 v7, v5
	s_mov_b32 s0, exec_lo
	s_waitcnt lgkmcnt(0)
	s_barrier
	buffer_gl0_inv
	v_cmpx_gt_u32_e32 13, v0
	s_cbranch_execz .LBB36_19
; %bb.18:
	v_lshl_add_u32 v7, v0, 4, v9
	ds_load_b64 v[7:8], v7
.LBB36_19:
	s_or_b32 exec_lo, exec_lo, s0
	v_cmp_gt_u32_e64 s0, 13, v0
	s_branch .LBB36_28
.LBB36_20:
                                        ; implicit-def: $vgpr7_vgpr8
	v_cmp_gt_u32_e64 s0, 13, v0
	s_cbranch_execz .LBB36_28
; %bb.21:
	v_cmp_lt_u32_e32 vcc_lo, 12, v0
	s_delay_alu instid0(VALU_DEP_2)
	s_and_saveexec_b32 s1, s0
	s_cbranch_execz .LBB36_23
; %bb.22:
	ds_load_2addr_b64 v[10:13], v9 offset1:26
	s_waitcnt lgkmcnt(0)
	v_add_f64 v[7:8], v[12:13], v[10:11]
	ds_store_b64 v9, v[7:8]
.LBB36_23:
	s_or_b32 exec_lo, exec_lo, s1
	s_waitcnt lgkmcnt(0)
	s_barrier
	buffer_gl0_inv
	s_and_saveexec_b32 s0, vcc_lo
	s_delay_alu instid0(SALU_CYCLE_1)
	s_xor_b32 s0, exec_lo, s0
	s_cbranch_execz .LBB36_25
; %bb.24:
	buffer_gl0_inv
                                        ; implicit-def: $vgpr9
.LBB36_25:
	s_and_not1_saveexec_b32 s0, s0
	s_cbranch_execz .LBB36_27
; %bb.26:
	ds_load_2addr_b64 v[5:8], v9 offset1:13
	s_waitcnt lgkmcnt(0)
	v_add_f64 v[5:6], v[7:8], v[5:6]
	ds_store_b64 v9, v[5:6]
	s_waitcnt lgkmcnt(0)
	buffer_gl0_inv
	ds_load_b64 v[5:6], v9
.LBB36_27:
	s_or_b32 exec_lo, exec_lo, s0
	s_waitcnt lgkmcnt(0)
	v_dual_mov_b32 v8, v6 :: v_dual_mov_b32 v7, v5
.LBB36_28:
	v_cmp_gt_u32_e32 vcc_lo, 13, v0
	s_and_b32 exec_lo, exec_lo, vcc_lo
	s_cbranch_execz .LBB36_33
; %bb.29:
	s_waitcnt lgkmcnt(0)
	v_mul_f64 v[3:4], v[3:4], v[7:8]
	s_mov_b32 s0, exec_lo
	v_cmpx_eq_f64_e32 0, v[1:2]
	s_xor_b32 s0, exec_lo, s0
	s_cbranch_execz .LBB36_31
; %bb.30:
	v_mad_u64_u32 v[1:2], null, s8, 13, v[0:1]
	v_mov_b32_e32 v2, 0
	s_delay_alu instid0(VALU_DEP_1) | instskip(NEXT) | instid1(VALU_DEP_1)
	v_lshlrev_b64 v[0:1], 3, v[1:2]
	v_add_co_u32 v0, vcc_lo, s2, v0
	s_delay_alu instid0(VALU_DEP_2)
	v_add_co_ci_u32_e32 v1, vcc_lo, s3, v1, vcc_lo
	global_store_b64 v[0:1], v[3:4], off
                                        ; implicit-def: $vgpr0
                                        ; implicit-def: $vgpr1_vgpr2
                                        ; implicit-def: $vgpr3_vgpr4
.LBB36_31:
	s_and_not1_saveexec_b32 s0, s0
	s_cbranch_execz .LBB36_33
; %bb.32:
	v_mad_u64_u32 v[5:6], null, s8, 13, v[0:1]
	v_mov_b32_e32 v6, 0
	s_delay_alu instid0(VALU_DEP_1) | instskip(NEXT) | instid1(VALU_DEP_1)
	v_lshlrev_b64 v[5:6], 3, v[5:6]
	v_add_co_u32 v5, vcc_lo, s2, v5
	s_delay_alu instid0(VALU_DEP_2)
	v_add_co_ci_u32_e32 v6, vcc_lo, s3, v6, vcc_lo
	global_load_b64 v[7:8], v[5:6], off
	s_waitcnt vmcnt(0)
	v_fma_f64 v[0:1], v[1:2], v[7:8], v[3:4]
	global_store_b64 v[5:6], v[0:1], off
.LBB36_33:
	s_nop 0
	s_sendmsg sendmsg(MSG_DEALLOC_VGPRS)
	s_endpgm
	.section	.rodata,"a",@progbits
	.p2align	6, 0x0
	.amdhsa_kernel _ZN9rocsparseL22gebsrmvn_mxn_16_kernelILj39ELj13ELj3EdEEvi20rocsparse_direction_NS_24const_host_device_scalarIT2_EEPKiS6_PKS3_iiS8_S4_PS3_21rocsparse_index_base_b
		.amdhsa_group_segment_fixed_size 312
		.amdhsa_private_segment_fixed_size 0
		.amdhsa_kernarg_size 80
		.amdhsa_user_sgpr_count 15
		.amdhsa_user_sgpr_dispatch_ptr 0
		.amdhsa_user_sgpr_queue_ptr 0
		.amdhsa_user_sgpr_kernarg_segment_ptr 1
		.amdhsa_user_sgpr_dispatch_id 0
		.amdhsa_user_sgpr_private_segment_size 0
		.amdhsa_wavefront_size32 1
		.amdhsa_uses_dynamic_stack 0
		.amdhsa_enable_private_segment 0
		.amdhsa_system_sgpr_workgroup_id_x 1
		.amdhsa_system_sgpr_workgroup_id_y 0
		.amdhsa_system_sgpr_workgroup_id_z 0
		.amdhsa_system_sgpr_workgroup_info 0
		.amdhsa_system_vgpr_workitem_id 0
		.amdhsa_next_free_vgpr 16
		.amdhsa_next_free_sgpr 16
		.amdhsa_reserve_vcc 1
		.amdhsa_float_round_mode_32 0
		.amdhsa_float_round_mode_16_64 0
		.amdhsa_float_denorm_mode_32 3
		.amdhsa_float_denorm_mode_16_64 3
		.amdhsa_dx10_clamp 1
		.amdhsa_ieee_mode 1
		.amdhsa_fp16_overflow 0
		.amdhsa_workgroup_processor_mode 1
		.amdhsa_memory_ordered 1
		.amdhsa_forward_progress 0
		.amdhsa_shared_vgpr_count 0
		.amdhsa_exception_fp_ieee_invalid_op 0
		.amdhsa_exception_fp_denorm_src 0
		.amdhsa_exception_fp_ieee_div_zero 0
		.amdhsa_exception_fp_ieee_overflow 0
		.amdhsa_exception_fp_ieee_underflow 0
		.amdhsa_exception_fp_ieee_inexact 0
		.amdhsa_exception_int_div_zero 0
	.end_amdhsa_kernel
	.section	.text._ZN9rocsparseL22gebsrmvn_mxn_16_kernelILj39ELj13ELj3EdEEvi20rocsparse_direction_NS_24const_host_device_scalarIT2_EEPKiS6_PKS3_iiS8_S4_PS3_21rocsparse_index_base_b,"axG",@progbits,_ZN9rocsparseL22gebsrmvn_mxn_16_kernelILj39ELj13ELj3EdEEvi20rocsparse_direction_NS_24const_host_device_scalarIT2_EEPKiS6_PKS3_iiS8_S4_PS3_21rocsparse_index_base_b,comdat
.Lfunc_end36:
	.size	_ZN9rocsparseL22gebsrmvn_mxn_16_kernelILj39ELj13ELj3EdEEvi20rocsparse_direction_NS_24const_host_device_scalarIT2_EEPKiS6_PKS3_iiS8_S4_PS3_21rocsparse_index_base_b, .Lfunc_end36-_ZN9rocsparseL22gebsrmvn_mxn_16_kernelILj39ELj13ELj3EdEEvi20rocsparse_direction_NS_24const_host_device_scalarIT2_EEPKiS6_PKS3_iiS8_S4_PS3_21rocsparse_index_base_b
                                        ; -- End function
	.section	.AMDGPU.csdata,"",@progbits
; Kernel info:
; codeLenInByte = 1196
; NumSgprs: 18
; NumVgprs: 16
; ScratchSize: 0
; MemoryBound: 0
; FloatMode: 240
; IeeeMode: 1
; LDSByteSize: 312 bytes/workgroup (compile time only)
; SGPRBlocks: 2
; VGPRBlocks: 1
; NumSGPRsForWavesPerEU: 18
; NumVGPRsForWavesPerEU: 16
; Occupancy: 16
; WaveLimiterHint : 1
; COMPUTE_PGM_RSRC2:SCRATCH_EN: 0
; COMPUTE_PGM_RSRC2:USER_SGPR: 15
; COMPUTE_PGM_RSRC2:TRAP_HANDLER: 0
; COMPUTE_PGM_RSRC2:TGID_X_EN: 1
; COMPUTE_PGM_RSRC2:TGID_Y_EN: 0
; COMPUTE_PGM_RSRC2:TGID_Z_EN: 0
; COMPUTE_PGM_RSRC2:TIDIG_COMP_CNT: 0
	.section	.text._ZN9rocsparseL22gebsrmvn_mxn_16_kernelILj52ELj13ELj4EdEEvi20rocsparse_direction_NS_24const_host_device_scalarIT2_EEPKiS6_PKS3_iiS8_S4_PS3_21rocsparse_index_base_b,"axG",@progbits,_ZN9rocsparseL22gebsrmvn_mxn_16_kernelILj52ELj13ELj4EdEEvi20rocsparse_direction_NS_24const_host_device_scalarIT2_EEPKiS6_PKS3_iiS8_S4_PS3_21rocsparse_index_base_b,comdat
	.globl	_ZN9rocsparseL22gebsrmvn_mxn_16_kernelILj52ELj13ELj4EdEEvi20rocsparse_direction_NS_24const_host_device_scalarIT2_EEPKiS6_PKS3_iiS8_S4_PS3_21rocsparse_index_base_b ; -- Begin function _ZN9rocsparseL22gebsrmvn_mxn_16_kernelILj52ELj13ELj4EdEEvi20rocsparse_direction_NS_24const_host_device_scalarIT2_EEPKiS6_PKS3_iiS8_S4_PS3_21rocsparse_index_base_b
	.p2align	8
	.type	_ZN9rocsparseL22gebsrmvn_mxn_16_kernelILj52ELj13ELj4EdEEvi20rocsparse_direction_NS_24const_host_device_scalarIT2_EEPKiS6_PKS3_iiS8_S4_PS3_21rocsparse_index_base_b,@function
_ZN9rocsparseL22gebsrmvn_mxn_16_kernelILj52ELj13ELj4EdEEvi20rocsparse_direction_NS_24const_host_device_scalarIT2_EEPKiS6_PKS3_iiS8_S4_PS3_21rocsparse_index_base_b: ; @_ZN9rocsparseL22gebsrmvn_mxn_16_kernelILj52ELj13ELj4EdEEvi20rocsparse_direction_NS_24const_host_device_scalarIT2_EEPKiS6_PKS3_iiS8_S4_PS3_21rocsparse_index_base_b
; %bb.0:
	s_clause 0x2
	s_load_b64 s[10:11], s[0:1], 0x48
	s_load_b64 s[4:5], s[0:1], 0x8
	;; [unrolled: 1-line block ×3, first 2 shown]
	s_mov_b32 s8, s15
	s_waitcnt lgkmcnt(0)
	s_bitcmp1_b32 s11, 0
	v_dual_mov_b32 v3, s4 :: v_dual_mov_b32 v4, s5
	s_cselect_b32 s6, -1, 0
	s_delay_alu instid0(SALU_CYCLE_1)
	s_and_b32 vcc_lo, exec_lo, s6
	s_xor_b32 s6, s6, -1
	s_cbranch_vccnz .LBB37_2
; %bb.1:
	v_dual_mov_b32 v1, s4 :: v_dual_mov_b32 v2, s5
	flat_load_b64 v[3:4], v[1:2]
.LBB37_2:
	v_dual_mov_b32 v1, s2 :: v_dual_mov_b32 v2, s3
	s_and_not1_b32 vcc_lo, exec_lo, s6
	s_cbranch_vccnz .LBB37_4
; %bb.3:
	v_dual_mov_b32 v1, s2 :: v_dual_mov_b32 v2, s3
	flat_load_b64 v[1:2], v[1:2]
.LBB37_4:
	s_waitcnt vmcnt(0) lgkmcnt(0)
	v_cmp_neq_f64_e32 vcc_lo, 0, v[3:4]
	v_cmp_neq_f64_e64 s2, 1.0, v[1:2]
	s_delay_alu instid0(VALU_DEP_1) | instskip(NEXT) | instid1(SALU_CYCLE_1)
	s_or_b32 s2, vcc_lo, s2
	s_and_saveexec_b32 s3, s2
	s_cbranch_execz .LBB37_33
; %bb.5:
	s_clause 0x1
	s_load_b32 s4, s[0:1], 0x4
	s_load_b64 s[2:3], s[0:1], 0x10
	v_and_b32_e32 v11, 3, v0
	s_delay_alu instid0(VALU_DEP_1) | instskip(SKIP_3) | instid1(SALU_CYCLE_1)
	v_mov_b32_e32 v12, v11
	s_waitcnt lgkmcnt(0)
	s_cmp_lg_u32 s4, 1
	s_cselect_b32 s11, -1, 0
	s_and_b32 vcc_lo, exec_lo, s11
	s_cbranch_vccnz .LBB37_7
; %bb.6:
	v_mul_u32_u24_e32 v5, 0x13b2, v0
	s_delay_alu instid0(VALU_DEP_1)
	v_bfe_u32 v12, v5, 16, 2
.LBB37_7:
	s_ashr_i32 s9, s8, 31
	v_mov_b32_e32 v5, 0
	s_lshl_b64 s[4:5], s[8:9], 2
	v_mov_b32_e32 v6, 0
	s_add_u32 s2, s2, s4
	s_addc_u32 s3, s3, s5
	s_load_b64 s[12:13], s[2:3], 0x0
	s_load_b64 s[2:3], s[0:1], 0x40
	s_waitcnt lgkmcnt(0)
	s_cmp_ge_i32 s12, s13
	s_cbranch_scc1 .LBB37_12
; %bb.8:
	s_clause 0x1
	s_load_b128 s[4:7], s[0:1], 0x18
	s_load_b64 s[0:1], s[0:1], 0x30
	v_mad_u64_u32 v[5:6], null, s12, 52, v[0:1]
	v_mul_u32_u24_e32 v6, 0x4ed, v0
	s_mul_i32 s9, s10, 52
	s_sub_i32 s12, s12, s10
	v_mov_b32_e32 v8, 0
	s_delay_alu instid0(VALU_DEP_2) | instskip(NEXT) | instid1(VALU_DEP_4)
	v_lshrrev_b32_e32 v13, 16, v6
	v_subrev_nc_u32_e32 v7, s9, v5
	v_mov_b32_e32 v5, 0
	v_mov_b32_e32 v6, 0
	s_sub_i32 s9, s13, s10
	s_set_inst_prefetch_distance 0x1
	s_branch .LBB37_10
	.p2align	6
.LBB37_9:                               ;   in Loop: Header=BB37_10 Depth=1
	s_or_b32 exec_lo, exec_lo, s13
	v_add_nc_u32_e32 v7, 52, v7
	s_add_i32 s12, s12, 1
	s_delay_alu instid0(SALU_CYCLE_1)
	s_cmp_ge_i32 s12, s9
	s_cbranch_scc1 .LBB37_12
.LBB37_10:                              ; =>This Inner Loop Header: Depth=1
	v_add_nc_u32_e32 v9, s12, v13
	s_mov_b32 s13, exec_lo
	s_delay_alu instid0(VALU_DEP_1)
	v_cmpx_gt_i32_e64 s9, v9
	s_cbranch_execz .LBB37_9
; %bb.11:                               ;   in Loop: Header=BB37_10 Depth=1
	v_ashrrev_i32_e32 v10, 31, v9
	v_lshlrev_b64 v[14:15], 3, v[7:8]
	s_delay_alu instid0(VALU_DEP_2) | instskip(SKIP_1) | instid1(VALU_DEP_1)
	v_lshlrev_b64 v[9:10], 2, v[9:10]
	s_waitcnt lgkmcnt(0)
	v_add_co_u32 v9, vcc_lo, s4, v9
	s_delay_alu instid0(VALU_DEP_2) | instskip(NEXT) | instid1(VALU_DEP_4)
	v_add_co_ci_u32_e32 v10, vcc_lo, s5, v10, vcc_lo
	v_add_co_u32 v14, vcc_lo, s6, v14
	v_add_co_ci_u32_e32 v15, vcc_lo, s7, v15, vcc_lo
	global_load_b32 v9, v[9:10], off
	s_waitcnt vmcnt(0)
	v_subrev_nc_u32_e32 v9, s10, v9
	s_delay_alu instid0(VALU_DEP_1) | instskip(NEXT) | instid1(VALU_DEP_1)
	v_lshl_or_b32 v9, v9, 2, v12
	v_ashrrev_i32_e32 v10, 31, v9
	s_delay_alu instid0(VALU_DEP_1) | instskip(NEXT) | instid1(VALU_DEP_1)
	v_lshlrev_b64 v[9:10], 3, v[9:10]
	v_add_co_u32 v9, vcc_lo, s0, v9
	s_delay_alu instid0(VALU_DEP_2)
	v_add_co_ci_u32_e32 v10, vcc_lo, s1, v10, vcc_lo
	global_load_b64 v[14:15], v[14:15], off
	global_load_b64 v[9:10], v[9:10], off
	s_waitcnt vmcnt(0)
	v_fma_f64 v[5:6], v[14:15], v[9:10], v[5:6]
	s_branch .LBB37_9
.LBB37_12:
	s_set_inst_prefetch_distance 0x2
	v_lshlrev_b32_e32 v9, 3, v0
	s_and_b32 vcc_lo, exec_lo, s11
	ds_store_b64 v9, v[5:6]
	s_waitcnt lgkmcnt(0)
	s_barrier
	buffer_gl0_inv
	s_cbranch_vccz .LBB37_20
; %bb.13:
	s_mov_b32 s0, exec_lo
	v_cmpx_gt_u32_e32 2, v11
	s_cbranch_execz .LBB37_15
; %bb.14:
	ds_load_2addr_b64 v[12:15], v9 offset1:2
	s_waitcnt lgkmcnt(0)
	v_add_f64 v[7:8], v[14:15], v[12:13]
	ds_store_b64 v9, v[7:8]
.LBB37_15:
	s_or_b32 exec_lo, exec_lo, s0
	s_delay_alu instid0(SALU_CYCLE_1)
	s_mov_b32 s0, exec_lo
	s_waitcnt lgkmcnt(0)
	s_barrier
	buffer_gl0_inv
	v_cmpx_eq_u32_e32 0, v11
	s_cbranch_execz .LBB37_17
; %bb.16:
	ds_load_2addr_b64 v[10:13], v9 offset1:1
	s_waitcnt lgkmcnt(0)
	v_add_f64 v[7:8], v[12:13], v[10:11]
	ds_store_b64 v9, v[7:8]
.LBB37_17:
	s_or_b32 exec_lo, exec_lo, s0
	v_dual_mov_b32 v8, v6 :: v_dual_mov_b32 v7, v5
	s_mov_b32 s0, exec_lo
	s_waitcnt lgkmcnt(0)
	s_barrier
	buffer_gl0_inv
	v_cmpx_gt_u32_e32 13, v0
	s_cbranch_execz .LBB37_19
; %bb.18:
	v_mad_u32_u24 v7, v0, 24, v9
	ds_load_b64 v[7:8], v7
.LBB37_19:
	s_or_b32 exec_lo, exec_lo, s0
	s_branch .LBB37_28
.LBB37_20:
                                        ; implicit-def: $vgpr7_vgpr8
	s_cbranch_execz .LBB37_28
; %bb.21:
	s_mov_b32 s0, exec_lo
	v_cmpx_gt_u32_e32 26, v0
	s_cbranch_execz .LBB37_23
; %bb.22:
	ds_load_2addr_b64 v[10:13], v9 offset1:26
	s_waitcnt lgkmcnt(0)
	v_add_f64 v[7:8], v[12:13], v[10:11]
	ds_store_b64 v9, v[7:8]
.LBB37_23:
	s_or_b32 exec_lo, exec_lo, s0
	s_delay_alu instid0(SALU_CYCLE_1)
	s_mov_b32 s0, exec_lo
	s_waitcnt lgkmcnt(0)
	buffer_gl0_inv
	v_cmpx_lt_u32_e32 12, v0
	s_xor_b32 s0, exec_lo, s0
	s_cbranch_execz .LBB37_25
; %bb.24:
	buffer_gl0_inv
                                        ; implicit-def: $vgpr9
.LBB37_25:
	s_and_not1_saveexec_b32 s0, s0
	s_cbranch_execz .LBB37_27
; %bb.26:
	ds_load_2addr_b64 v[5:8], v9 offset1:13
	s_waitcnt lgkmcnt(0)
	v_add_f64 v[5:6], v[7:8], v[5:6]
	ds_store_b64 v9, v[5:6]
	s_waitcnt lgkmcnt(0)
	buffer_gl0_inv
	ds_load_b64 v[5:6], v9
.LBB37_27:
	s_or_b32 exec_lo, exec_lo, s0
	s_waitcnt lgkmcnt(0)
	v_dual_mov_b32 v8, v6 :: v_dual_mov_b32 v7, v5
.LBB37_28:
	v_cmp_gt_u32_e32 vcc_lo, 13, v0
	s_and_b32 exec_lo, exec_lo, vcc_lo
	s_cbranch_execz .LBB37_33
; %bb.29:
	s_waitcnt lgkmcnt(0)
	v_mul_f64 v[3:4], v[3:4], v[7:8]
	s_mov_b32 s0, exec_lo
	v_cmpx_eq_f64_e32 0, v[1:2]
	s_xor_b32 s0, exec_lo, s0
	s_cbranch_execz .LBB37_31
; %bb.30:
	v_mad_u64_u32 v[1:2], null, s8, 13, v[0:1]
	v_mov_b32_e32 v2, 0
	s_delay_alu instid0(VALU_DEP_1) | instskip(NEXT) | instid1(VALU_DEP_1)
	v_lshlrev_b64 v[0:1], 3, v[1:2]
	v_add_co_u32 v0, vcc_lo, s2, v0
	s_delay_alu instid0(VALU_DEP_2)
	v_add_co_ci_u32_e32 v1, vcc_lo, s3, v1, vcc_lo
	global_store_b64 v[0:1], v[3:4], off
                                        ; implicit-def: $vgpr0
                                        ; implicit-def: $vgpr1_vgpr2
                                        ; implicit-def: $vgpr3_vgpr4
.LBB37_31:
	s_and_not1_saveexec_b32 s0, s0
	s_cbranch_execz .LBB37_33
; %bb.32:
	v_mad_u64_u32 v[5:6], null, s8, 13, v[0:1]
	v_mov_b32_e32 v6, 0
	s_delay_alu instid0(VALU_DEP_1) | instskip(NEXT) | instid1(VALU_DEP_1)
	v_lshlrev_b64 v[5:6], 3, v[5:6]
	v_add_co_u32 v5, vcc_lo, s2, v5
	s_delay_alu instid0(VALU_DEP_2)
	v_add_co_ci_u32_e32 v6, vcc_lo, s3, v6, vcc_lo
	global_load_b64 v[7:8], v[5:6], off
	s_waitcnt vmcnt(0)
	v_fma_f64 v[0:1], v[1:2], v[7:8], v[3:4]
	global_store_b64 v[5:6], v[0:1], off
.LBB37_33:
	s_nop 0
	s_sendmsg sendmsg(MSG_DEALLOC_VGPRS)
	s_endpgm
	.section	.rodata,"a",@progbits
	.p2align	6, 0x0
	.amdhsa_kernel _ZN9rocsparseL22gebsrmvn_mxn_16_kernelILj52ELj13ELj4EdEEvi20rocsparse_direction_NS_24const_host_device_scalarIT2_EEPKiS6_PKS3_iiS8_S4_PS3_21rocsparse_index_base_b
		.amdhsa_group_segment_fixed_size 416
		.amdhsa_private_segment_fixed_size 0
		.amdhsa_kernarg_size 80
		.amdhsa_user_sgpr_count 15
		.amdhsa_user_sgpr_dispatch_ptr 0
		.amdhsa_user_sgpr_queue_ptr 0
		.amdhsa_user_sgpr_kernarg_segment_ptr 1
		.amdhsa_user_sgpr_dispatch_id 0
		.amdhsa_user_sgpr_private_segment_size 0
		.amdhsa_wavefront_size32 1
		.amdhsa_uses_dynamic_stack 0
		.amdhsa_enable_private_segment 0
		.amdhsa_system_sgpr_workgroup_id_x 1
		.amdhsa_system_sgpr_workgroup_id_y 0
		.amdhsa_system_sgpr_workgroup_id_z 0
		.amdhsa_system_sgpr_workgroup_info 0
		.amdhsa_system_vgpr_workitem_id 0
		.amdhsa_next_free_vgpr 16
		.amdhsa_next_free_sgpr 16
		.amdhsa_reserve_vcc 1
		.amdhsa_float_round_mode_32 0
		.amdhsa_float_round_mode_16_64 0
		.amdhsa_float_denorm_mode_32 3
		.amdhsa_float_denorm_mode_16_64 3
		.amdhsa_dx10_clamp 1
		.amdhsa_ieee_mode 1
		.amdhsa_fp16_overflow 0
		.amdhsa_workgroup_processor_mode 1
		.amdhsa_memory_ordered 1
		.amdhsa_forward_progress 0
		.amdhsa_shared_vgpr_count 0
		.amdhsa_exception_fp_ieee_invalid_op 0
		.amdhsa_exception_fp_denorm_src 0
		.amdhsa_exception_fp_ieee_div_zero 0
		.amdhsa_exception_fp_ieee_overflow 0
		.amdhsa_exception_fp_ieee_underflow 0
		.amdhsa_exception_fp_ieee_inexact 0
		.amdhsa_exception_int_div_zero 0
	.end_amdhsa_kernel
	.section	.text._ZN9rocsparseL22gebsrmvn_mxn_16_kernelILj52ELj13ELj4EdEEvi20rocsparse_direction_NS_24const_host_device_scalarIT2_EEPKiS6_PKS3_iiS8_S4_PS3_21rocsparse_index_base_b,"axG",@progbits,_ZN9rocsparseL22gebsrmvn_mxn_16_kernelILj52ELj13ELj4EdEEvi20rocsparse_direction_NS_24const_host_device_scalarIT2_EEPKiS6_PKS3_iiS8_S4_PS3_21rocsparse_index_base_b,comdat
.Lfunc_end37:
	.size	_ZN9rocsparseL22gebsrmvn_mxn_16_kernelILj52ELj13ELj4EdEEvi20rocsparse_direction_NS_24const_host_device_scalarIT2_EEPKiS6_PKS3_iiS8_S4_PS3_21rocsparse_index_base_b, .Lfunc_end37-_ZN9rocsparseL22gebsrmvn_mxn_16_kernelILj52ELj13ELj4EdEEvi20rocsparse_direction_NS_24const_host_device_scalarIT2_EEPKiS6_PKS3_iiS8_S4_PS3_21rocsparse_index_base_b
                                        ; -- End function
	.section	.AMDGPU.csdata,"",@progbits
; Kernel info:
; codeLenInByte = 1092
; NumSgprs: 18
; NumVgprs: 16
; ScratchSize: 0
; MemoryBound: 0
; FloatMode: 240
; IeeeMode: 1
; LDSByteSize: 416 bytes/workgroup (compile time only)
; SGPRBlocks: 2
; VGPRBlocks: 1
; NumSGPRsForWavesPerEU: 18
; NumVGPRsForWavesPerEU: 16
; Occupancy: 16
; WaveLimiterHint : 1
; COMPUTE_PGM_RSRC2:SCRATCH_EN: 0
; COMPUTE_PGM_RSRC2:USER_SGPR: 15
; COMPUTE_PGM_RSRC2:TRAP_HANDLER: 0
; COMPUTE_PGM_RSRC2:TGID_X_EN: 1
; COMPUTE_PGM_RSRC2:TGID_Y_EN: 0
; COMPUTE_PGM_RSRC2:TGID_Z_EN: 0
; COMPUTE_PGM_RSRC2:TIDIG_COMP_CNT: 0
	.section	.text._ZN9rocsparseL22gebsrmvn_mxn_16_kernelILj65ELj13ELj5EdEEvi20rocsparse_direction_NS_24const_host_device_scalarIT2_EEPKiS6_PKS3_iiS8_S4_PS3_21rocsparse_index_base_b,"axG",@progbits,_ZN9rocsparseL22gebsrmvn_mxn_16_kernelILj65ELj13ELj5EdEEvi20rocsparse_direction_NS_24const_host_device_scalarIT2_EEPKiS6_PKS3_iiS8_S4_PS3_21rocsparse_index_base_b,comdat
	.globl	_ZN9rocsparseL22gebsrmvn_mxn_16_kernelILj65ELj13ELj5EdEEvi20rocsparse_direction_NS_24const_host_device_scalarIT2_EEPKiS6_PKS3_iiS8_S4_PS3_21rocsparse_index_base_b ; -- Begin function _ZN9rocsparseL22gebsrmvn_mxn_16_kernelILj65ELj13ELj5EdEEvi20rocsparse_direction_NS_24const_host_device_scalarIT2_EEPKiS6_PKS3_iiS8_S4_PS3_21rocsparse_index_base_b
	.p2align	8
	.type	_ZN9rocsparseL22gebsrmvn_mxn_16_kernelILj65ELj13ELj5EdEEvi20rocsparse_direction_NS_24const_host_device_scalarIT2_EEPKiS6_PKS3_iiS8_S4_PS3_21rocsparse_index_base_b,@function
_ZN9rocsparseL22gebsrmvn_mxn_16_kernelILj65ELj13ELj5EdEEvi20rocsparse_direction_NS_24const_host_device_scalarIT2_EEPKiS6_PKS3_iiS8_S4_PS3_21rocsparse_index_base_b: ; @_ZN9rocsparseL22gebsrmvn_mxn_16_kernelILj65ELj13ELj5EdEEvi20rocsparse_direction_NS_24const_host_device_scalarIT2_EEPKiS6_PKS3_iiS8_S4_PS3_21rocsparse_index_base_b
; %bb.0:
	s_clause 0x2
	s_load_b64 s[10:11], s[0:1], 0x48
	s_load_b64 s[4:5], s[0:1], 0x8
	;; [unrolled: 1-line block ×3, first 2 shown]
	s_mov_b32 s8, s15
	s_waitcnt lgkmcnt(0)
	s_bitcmp1_b32 s11, 0
	v_dual_mov_b32 v3, s4 :: v_dual_mov_b32 v4, s5
	s_cselect_b32 s6, -1, 0
	s_delay_alu instid0(SALU_CYCLE_1)
	s_and_b32 vcc_lo, exec_lo, s6
	s_xor_b32 s6, s6, -1
	s_cbranch_vccnz .LBB38_2
; %bb.1:
	v_dual_mov_b32 v1, s4 :: v_dual_mov_b32 v2, s5
	flat_load_b64 v[3:4], v[1:2]
.LBB38_2:
	v_dual_mov_b32 v1, s2 :: v_dual_mov_b32 v2, s3
	s_and_not1_b32 vcc_lo, exec_lo, s6
	s_cbranch_vccnz .LBB38_4
; %bb.3:
	v_dual_mov_b32 v1, s2 :: v_dual_mov_b32 v2, s3
	flat_load_b64 v[1:2], v[1:2]
.LBB38_4:
	s_waitcnt vmcnt(0) lgkmcnt(0)
	v_cmp_neq_f64_e32 vcc_lo, 0, v[3:4]
	v_cmp_neq_f64_e64 s2, 1.0, v[1:2]
	s_delay_alu instid0(VALU_DEP_1) | instskip(NEXT) | instid1(SALU_CYCLE_1)
	s_or_b32 s2, vcc_lo, s2
	s_and_saveexec_b32 s3, s2
	s_cbranch_execz .LBB38_37
; %bb.5:
	v_mul_u32_u24_e32 v5, 0x3334, v0
	s_clause 0x1
	s_load_b32 s4, s[0:1], 0x4
	s_load_b64 s[2:3], s[0:1], 0x10
	s_delay_alu instid0(VALU_DEP_1) | instskip(NEXT) | instid1(VALU_DEP_1)
	v_lshrrev_b32_e32 v5, 16, v5
	v_mul_lo_u16 v5, v5, 5
	s_delay_alu instid0(VALU_DEP_1) | instskip(NEXT) | instid1(VALU_DEP_1)
	v_sub_nc_u16 v5, v0, v5
	v_and_b32_e32 v12, 0xffff, v5
	s_waitcnt lgkmcnt(0)
	s_cmp_lg_u32 s4, 1
	v_and_b32_e32 v8, 0xffff, v0
	s_cselect_b32 s11, -1, 0
	v_mov_b32_e32 v7, v12
	s_and_b32 vcc_lo, exec_lo, s11
	s_cbranch_vccnz .LBB38_7
; %bb.6:
	v_mul_u32_u24_e32 v5, 0x13b2, v8
	s_delay_alu instid0(VALU_DEP_1) | instskip(NEXT) | instid1(VALU_DEP_1)
	v_lshrrev_b32_e32 v5, 16, v5
	v_mul_lo_u16 v6, v5, 52
	s_delay_alu instid0(VALU_DEP_1) | instskip(NEXT) | instid1(VALU_DEP_1)
	v_lshrrev_b16 v6, 8, v6
	v_mul_lo_u16 v6, v6, 5
	s_delay_alu instid0(VALU_DEP_1) | instskip(NEXT) | instid1(VALU_DEP_1)
	v_sub_nc_u16 v5, v5, v6
	v_and_b32_e32 v7, 0xff, v5
.LBB38_7:
	s_ashr_i32 s9, s8, 31
	v_mov_b32_e32 v5, 0
	s_lshl_b64 s[4:5], s[8:9], 2
	v_mov_b32_e32 v6, 0
	s_add_u32 s2, s2, s4
	s_addc_u32 s3, s3, s5
	s_load_b64 s[12:13], s[2:3], 0x0
	s_load_b64 s[2:3], s[0:1], 0x40
	s_waitcnt lgkmcnt(0)
	s_cmp_ge_i32 s12, s13
	s_cbranch_scc1 .LBB38_12
; %bb.8:
	s_clause 0x1
	s_load_b128 s[4:7], s[0:1], 0x18
	s_load_b64 s[0:1], s[0:1], 0x30
	v_mad_u64_u32 v[5:6], null, 0x41, s12, v[0:1]
	v_mul_u32_u24_e32 v6, 0x3f1, v8
	s_mul_i32 s9, s10, 0x41
	s_sub_i32 s12, s12, s10
	v_mov_b32_e32 v9, 0
	s_delay_alu instid0(VALU_DEP_2) | instskip(NEXT) | instid1(VALU_DEP_4)
	v_lshrrev_b32_e32 v13, 16, v6
	v_subrev_nc_u32_e32 v8, s9, v5
	v_mov_b32_e32 v5, 0
	v_mov_b32_e32 v6, 0
	s_sub_i32 s9, s13, s10
	s_set_inst_prefetch_distance 0x1
	s_branch .LBB38_10
	.p2align	6
.LBB38_9:                               ;   in Loop: Header=BB38_10 Depth=1
	s_or_b32 exec_lo, exec_lo, s13
	v_add_nc_u32_e32 v8, 0x41, v8
	s_add_i32 s12, s12, 1
	s_delay_alu instid0(SALU_CYCLE_1)
	s_cmp_ge_i32 s12, s9
	s_cbranch_scc1 .LBB38_12
.LBB38_10:                              ; =>This Inner Loop Header: Depth=1
	v_add_nc_u32_e32 v10, s12, v13
	s_mov_b32 s13, exec_lo
	s_delay_alu instid0(VALU_DEP_1)
	v_cmpx_gt_i32_e64 s9, v10
	s_cbranch_execz .LBB38_9
; %bb.11:                               ;   in Loop: Header=BB38_10 Depth=1
	v_ashrrev_i32_e32 v11, 31, v10
	s_delay_alu instid0(VALU_DEP_1) | instskip(SKIP_1) | instid1(VALU_DEP_1)
	v_lshlrev_b64 v[10:11], 2, v[10:11]
	s_waitcnt lgkmcnt(0)
	v_add_co_u32 v10, vcc_lo, s4, v10
	s_delay_alu instid0(VALU_DEP_2) | instskip(SKIP_3) | instid1(VALU_DEP_1)
	v_add_co_ci_u32_e32 v11, vcc_lo, s5, v11, vcc_lo
	global_load_b32 v10, v[10:11], off
	s_waitcnt vmcnt(0)
	v_subrev_nc_u32_e32 v14, s10, v10
	v_mad_u64_u32 v[10:11], null, v14, 5, v[7:8]
	v_lshlrev_b64 v[14:15], 3, v[8:9]
	s_delay_alu instid0(VALU_DEP_1) | instskip(NEXT) | instid1(VALU_DEP_3)
	v_add_co_u32 v14, vcc_lo, s6, v14
	v_ashrrev_i32_e32 v11, 31, v10
	s_delay_alu instid0(VALU_DEP_3) | instskip(NEXT) | instid1(VALU_DEP_2)
	v_add_co_ci_u32_e32 v15, vcc_lo, s7, v15, vcc_lo
	v_lshlrev_b64 v[10:11], 3, v[10:11]
	s_delay_alu instid0(VALU_DEP_1) | instskip(NEXT) | instid1(VALU_DEP_2)
	v_add_co_u32 v10, vcc_lo, s0, v10
	v_add_co_ci_u32_e32 v11, vcc_lo, s1, v11, vcc_lo
	global_load_b64 v[14:15], v[14:15], off
	global_load_b64 v[10:11], v[10:11], off
	s_waitcnt vmcnt(0)
	v_fma_f64 v[5:6], v[14:15], v[10:11], v[5:6]
	s_branch .LBB38_9
.LBB38_12:
	s_set_inst_prefetch_distance 0x2
	v_lshlrev_b32_e32 v9, 3, v0
	s_and_b32 vcc_lo, exec_lo, s11
	ds_store_b64 v9, v[5:6]
	s_waitcnt lgkmcnt(0)
	s_barrier
	buffer_gl0_inv
	s_cbranch_vccz .LBB38_22
; %bb.13:
	v_cmp_eq_u16_e32 vcc_lo, 0, v12
	s_and_saveexec_b32 s0, vcc_lo
	s_cbranch_execz .LBB38_15
; %bb.14:
	ds_load_2addr_b64 v[13:16], v9 offset1:4
	s_waitcnt lgkmcnt(0)
	v_add_f64 v[7:8], v[15:16], v[13:14]
	ds_store_b64 v9, v[7:8]
.LBB38_15:
	s_or_b32 exec_lo, exec_lo, s0
	s_delay_alu instid0(SALU_CYCLE_1)
	s_mov_b32 s1, exec_lo
	s_waitcnt lgkmcnt(0)
	s_barrier
	buffer_gl0_inv
	v_cmpx_gt_u16_e32 2, v12
	s_cbranch_execz .LBB38_17
; %bb.16:
	ds_load_2addr_b64 v[10:13], v9 offset1:2
	s_waitcnt lgkmcnt(0)
	v_add_f64 v[7:8], v[12:13], v[10:11]
	ds_store_b64 v9, v[7:8]
.LBB38_17:
	s_or_b32 exec_lo, exec_lo, s1
	s_waitcnt lgkmcnt(0)
	s_barrier
	buffer_gl0_inv
	s_and_saveexec_b32 s0, vcc_lo
	s_cbranch_execz .LBB38_19
; %bb.18:
	ds_load_2addr_b64 v[10:13], v9 offset1:1
	s_waitcnt lgkmcnt(0)
	v_add_f64 v[7:8], v[12:13], v[10:11]
	ds_store_b64 v9, v[7:8]
.LBB38_19:
	s_or_b32 exec_lo, exec_lo, s0
	v_dual_mov_b32 v8, v6 :: v_dual_mov_b32 v7, v5
	s_mov_b32 s0, exec_lo
	s_waitcnt lgkmcnt(0)
	s_barrier
	buffer_gl0_inv
	v_cmpx_gt_u32_e32 13, v0
	s_cbranch_execz .LBB38_21
; %bb.20:
	v_lshl_add_u32 v7, v0, 5, v9
	ds_load_b64 v[7:8], v7
.LBB38_21:
	s_or_b32 exec_lo, exec_lo, s0
	v_cmp_gt_u32_e64 s0, 13, v0
	s_branch .LBB38_32
.LBB38_22:
                                        ; implicit-def: $vgpr7_vgpr8
	v_cmp_gt_u32_e64 s0, 13, v0
	s_cbranch_execz .LBB38_32
; %bb.23:
	v_cmp_lt_u32_e32 vcc_lo, 12, v0
	s_delay_alu instid0(VALU_DEP_2)
	s_and_saveexec_b32 s1, s0
	s_cbranch_execz .LBB38_25
; %bb.24:
	ds_load_2addr_b64 v[10:13], v9 offset1:52
	s_waitcnt lgkmcnt(0)
	v_add_f64 v[7:8], v[12:13], v[10:11]
	ds_store_b64 v9, v[7:8]
.LBB38_25:
	s_or_b32 exec_lo, exec_lo, s1
	s_delay_alu instid0(SALU_CYCLE_1)
	s_mov_b32 s1, exec_lo
	s_waitcnt lgkmcnt(0)
	s_barrier
	buffer_gl0_inv
	v_cmpx_gt_u32_e32 26, v0
	s_cbranch_execz .LBB38_27
; %bb.26:
	ds_load_2addr_b64 v[10:13], v9 offset1:26
	s_waitcnt lgkmcnt(0)
	v_add_f64 v[7:8], v[12:13], v[10:11]
	ds_store_b64 v9, v[7:8]
.LBB38_27:
	s_or_b32 exec_lo, exec_lo, s1
	s_waitcnt lgkmcnt(0)
	buffer_gl0_inv
	s_and_saveexec_b32 s0, vcc_lo
	s_delay_alu instid0(SALU_CYCLE_1)
	s_xor_b32 s0, exec_lo, s0
	s_cbranch_execz .LBB38_29
; %bb.28:
	buffer_gl0_inv
                                        ; implicit-def: $vgpr9
.LBB38_29:
	s_and_not1_saveexec_b32 s0, s0
	s_cbranch_execz .LBB38_31
; %bb.30:
	ds_load_2addr_b64 v[5:8], v9 offset1:13
	s_waitcnt lgkmcnt(0)
	v_add_f64 v[5:6], v[7:8], v[5:6]
	ds_store_b64 v9, v[5:6]
	s_waitcnt lgkmcnt(0)
	buffer_gl0_inv
	ds_load_b64 v[5:6], v9
.LBB38_31:
	s_or_b32 exec_lo, exec_lo, s0
	s_waitcnt lgkmcnt(0)
	v_dual_mov_b32 v8, v6 :: v_dual_mov_b32 v7, v5
.LBB38_32:
	v_cmp_gt_u32_e32 vcc_lo, 13, v0
	s_and_b32 exec_lo, exec_lo, vcc_lo
	s_cbranch_execz .LBB38_37
; %bb.33:
	s_waitcnt lgkmcnt(0)
	v_mul_f64 v[3:4], v[3:4], v[7:8]
	s_mov_b32 s0, exec_lo
	v_cmpx_eq_f64_e32 0, v[1:2]
	s_xor_b32 s0, exec_lo, s0
	s_cbranch_execz .LBB38_35
; %bb.34:
	v_mad_u64_u32 v[1:2], null, s8, 13, v[0:1]
	v_mov_b32_e32 v2, 0
	s_delay_alu instid0(VALU_DEP_1) | instskip(NEXT) | instid1(VALU_DEP_1)
	v_lshlrev_b64 v[0:1], 3, v[1:2]
	v_add_co_u32 v0, vcc_lo, s2, v0
	s_delay_alu instid0(VALU_DEP_2)
	v_add_co_ci_u32_e32 v1, vcc_lo, s3, v1, vcc_lo
	global_store_b64 v[0:1], v[3:4], off
                                        ; implicit-def: $vgpr0
                                        ; implicit-def: $vgpr1_vgpr2
                                        ; implicit-def: $vgpr3_vgpr4
.LBB38_35:
	s_and_not1_saveexec_b32 s0, s0
	s_cbranch_execz .LBB38_37
; %bb.36:
	v_mad_u64_u32 v[5:6], null, s8, 13, v[0:1]
	v_mov_b32_e32 v6, 0
	s_delay_alu instid0(VALU_DEP_1) | instskip(NEXT) | instid1(VALU_DEP_1)
	v_lshlrev_b64 v[5:6], 3, v[5:6]
	v_add_co_u32 v5, vcc_lo, s2, v5
	s_delay_alu instid0(VALU_DEP_2)
	v_add_co_ci_u32_e32 v6, vcc_lo, s3, v6, vcc_lo
	global_load_b64 v[7:8], v[5:6], off
	s_waitcnt vmcnt(0)
	v_fma_f64 v[0:1], v[1:2], v[7:8], v[3:4]
	global_store_b64 v[5:6], v[0:1], off
.LBB38_37:
	s_nop 0
	s_sendmsg sendmsg(MSG_DEALLOC_VGPRS)
	s_endpgm
	.section	.rodata,"a",@progbits
	.p2align	6, 0x0
	.amdhsa_kernel _ZN9rocsparseL22gebsrmvn_mxn_16_kernelILj65ELj13ELj5EdEEvi20rocsparse_direction_NS_24const_host_device_scalarIT2_EEPKiS6_PKS3_iiS8_S4_PS3_21rocsparse_index_base_b
		.amdhsa_group_segment_fixed_size 520
		.amdhsa_private_segment_fixed_size 0
		.amdhsa_kernarg_size 80
		.amdhsa_user_sgpr_count 15
		.amdhsa_user_sgpr_dispatch_ptr 0
		.amdhsa_user_sgpr_queue_ptr 0
		.amdhsa_user_sgpr_kernarg_segment_ptr 1
		.amdhsa_user_sgpr_dispatch_id 0
		.amdhsa_user_sgpr_private_segment_size 0
		.amdhsa_wavefront_size32 1
		.amdhsa_uses_dynamic_stack 0
		.amdhsa_enable_private_segment 0
		.amdhsa_system_sgpr_workgroup_id_x 1
		.amdhsa_system_sgpr_workgroup_id_y 0
		.amdhsa_system_sgpr_workgroup_id_z 0
		.amdhsa_system_sgpr_workgroup_info 0
		.amdhsa_system_vgpr_workitem_id 0
		.amdhsa_next_free_vgpr 17
		.amdhsa_next_free_sgpr 16
		.amdhsa_reserve_vcc 1
		.amdhsa_float_round_mode_32 0
		.amdhsa_float_round_mode_16_64 0
		.amdhsa_float_denorm_mode_32 3
		.amdhsa_float_denorm_mode_16_64 3
		.amdhsa_dx10_clamp 1
		.amdhsa_ieee_mode 1
		.amdhsa_fp16_overflow 0
		.amdhsa_workgroup_processor_mode 1
		.amdhsa_memory_ordered 1
		.amdhsa_forward_progress 0
		.amdhsa_shared_vgpr_count 0
		.amdhsa_exception_fp_ieee_invalid_op 0
		.amdhsa_exception_fp_denorm_src 0
		.amdhsa_exception_fp_ieee_div_zero 0
		.amdhsa_exception_fp_ieee_overflow 0
		.amdhsa_exception_fp_ieee_underflow 0
		.amdhsa_exception_fp_ieee_inexact 0
		.amdhsa_exception_int_div_zero 0
	.end_amdhsa_kernel
	.section	.text._ZN9rocsparseL22gebsrmvn_mxn_16_kernelILj65ELj13ELj5EdEEvi20rocsparse_direction_NS_24const_host_device_scalarIT2_EEPKiS6_PKS3_iiS8_S4_PS3_21rocsparse_index_base_b,"axG",@progbits,_ZN9rocsparseL22gebsrmvn_mxn_16_kernelILj65ELj13ELj5EdEEvi20rocsparse_direction_NS_24const_host_device_scalarIT2_EEPKiS6_PKS3_iiS8_S4_PS3_21rocsparse_index_base_b,comdat
.Lfunc_end38:
	.size	_ZN9rocsparseL22gebsrmvn_mxn_16_kernelILj65ELj13ELj5EdEEvi20rocsparse_direction_NS_24const_host_device_scalarIT2_EEPKiS6_PKS3_iiS8_S4_PS3_21rocsparse_index_base_b, .Lfunc_end38-_ZN9rocsparseL22gebsrmvn_mxn_16_kernelILj65ELj13ELj5EdEEvi20rocsparse_direction_NS_24const_host_device_scalarIT2_EEPKiS6_PKS3_iiS8_S4_PS3_21rocsparse_index_base_b
                                        ; -- End function
	.section	.AMDGPU.csdata,"",@progbits
; Kernel info:
; codeLenInByte = 1328
; NumSgprs: 18
; NumVgprs: 17
; ScratchSize: 0
; MemoryBound: 0
; FloatMode: 240
; IeeeMode: 1
; LDSByteSize: 520 bytes/workgroup (compile time only)
; SGPRBlocks: 2
; VGPRBlocks: 2
; NumSGPRsForWavesPerEU: 18
; NumVGPRsForWavesPerEU: 17
; Occupancy: 16
; WaveLimiterHint : 1
; COMPUTE_PGM_RSRC2:SCRATCH_EN: 0
; COMPUTE_PGM_RSRC2:USER_SGPR: 15
; COMPUTE_PGM_RSRC2:TRAP_HANDLER: 0
; COMPUTE_PGM_RSRC2:TGID_X_EN: 1
; COMPUTE_PGM_RSRC2:TGID_Y_EN: 0
; COMPUTE_PGM_RSRC2:TGID_Z_EN: 0
; COMPUTE_PGM_RSRC2:TIDIG_COMP_CNT: 0
	.section	.text._ZN9rocsparseL22gebsrmvn_mxn_16_kernelILj78ELj13ELj6EdEEvi20rocsparse_direction_NS_24const_host_device_scalarIT2_EEPKiS6_PKS3_iiS8_S4_PS3_21rocsparse_index_base_b,"axG",@progbits,_ZN9rocsparseL22gebsrmvn_mxn_16_kernelILj78ELj13ELj6EdEEvi20rocsparse_direction_NS_24const_host_device_scalarIT2_EEPKiS6_PKS3_iiS8_S4_PS3_21rocsparse_index_base_b,comdat
	.globl	_ZN9rocsparseL22gebsrmvn_mxn_16_kernelILj78ELj13ELj6EdEEvi20rocsparse_direction_NS_24const_host_device_scalarIT2_EEPKiS6_PKS3_iiS8_S4_PS3_21rocsparse_index_base_b ; -- Begin function _ZN9rocsparseL22gebsrmvn_mxn_16_kernelILj78ELj13ELj6EdEEvi20rocsparse_direction_NS_24const_host_device_scalarIT2_EEPKiS6_PKS3_iiS8_S4_PS3_21rocsparse_index_base_b
	.p2align	8
	.type	_ZN9rocsparseL22gebsrmvn_mxn_16_kernelILj78ELj13ELj6EdEEvi20rocsparse_direction_NS_24const_host_device_scalarIT2_EEPKiS6_PKS3_iiS8_S4_PS3_21rocsparse_index_base_b,@function
_ZN9rocsparseL22gebsrmvn_mxn_16_kernelILj78ELj13ELj6EdEEvi20rocsparse_direction_NS_24const_host_device_scalarIT2_EEPKiS6_PKS3_iiS8_S4_PS3_21rocsparse_index_base_b: ; @_ZN9rocsparseL22gebsrmvn_mxn_16_kernelILj78ELj13ELj6EdEEvi20rocsparse_direction_NS_24const_host_device_scalarIT2_EEPKiS6_PKS3_iiS8_S4_PS3_21rocsparse_index_base_b
; %bb.0:
	s_clause 0x2
	s_load_b64 s[10:11], s[0:1], 0x48
	s_load_b64 s[4:5], s[0:1], 0x8
	;; [unrolled: 1-line block ×3, first 2 shown]
	s_mov_b32 s8, s15
	s_waitcnt lgkmcnt(0)
	s_bitcmp1_b32 s11, 0
	v_dual_mov_b32 v3, s4 :: v_dual_mov_b32 v4, s5
	s_cselect_b32 s6, -1, 0
	s_delay_alu instid0(SALU_CYCLE_1)
	s_and_b32 vcc_lo, exec_lo, s6
	s_xor_b32 s6, s6, -1
	s_cbranch_vccnz .LBB39_2
; %bb.1:
	v_dual_mov_b32 v1, s4 :: v_dual_mov_b32 v2, s5
	flat_load_b64 v[3:4], v[1:2]
.LBB39_2:
	v_dual_mov_b32 v1, s2 :: v_dual_mov_b32 v2, s3
	s_and_not1_b32 vcc_lo, exec_lo, s6
	s_cbranch_vccnz .LBB39_4
; %bb.3:
	v_dual_mov_b32 v1, s2 :: v_dual_mov_b32 v2, s3
	flat_load_b64 v[1:2], v[1:2]
.LBB39_4:
	s_waitcnt vmcnt(0) lgkmcnt(0)
	v_cmp_neq_f64_e32 vcc_lo, 0, v[3:4]
	v_cmp_neq_f64_e64 s2, 1.0, v[1:2]
	s_delay_alu instid0(VALU_DEP_1) | instskip(NEXT) | instid1(SALU_CYCLE_1)
	s_or_b32 s2, vcc_lo, s2
	s_and_saveexec_b32 s3, s2
	s_cbranch_execz .LBB39_37
; %bb.5:
	v_mul_u32_u24_e32 v5, 0x2aab, v0
	s_clause 0x1
	s_load_b32 s4, s[0:1], 0x4
	s_load_b64 s[2:3], s[0:1], 0x10
	s_delay_alu instid0(VALU_DEP_1) | instskip(NEXT) | instid1(VALU_DEP_1)
	v_lshrrev_b32_e32 v5, 16, v5
	v_mul_lo_u16 v5, v5, 6
	s_delay_alu instid0(VALU_DEP_1) | instskip(NEXT) | instid1(VALU_DEP_1)
	v_sub_nc_u16 v5, v0, v5
	v_and_b32_e32 v12, 0xffff, v5
	s_waitcnt lgkmcnt(0)
	s_cmp_lg_u32 s4, 1
	v_and_b32_e32 v8, 0xffff, v0
	s_cselect_b32 s11, -1, 0
	v_mov_b32_e32 v7, v12
	s_and_b32 vcc_lo, exec_lo, s11
	s_cbranch_vccnz .LBB39_7
; %bb.6:
	v_mul_u32_u24_e32 v5, 0x13b2, v8
	s_delay_alu instid0(VALU_DEP_1) | instskip(NEXT) | instid1(VALU_DEP_1)
	v_lshrrev_b32_e32 v5, 16, v5
	v_mul_lo_u16 v6, v5, 43
	s_delay_alu instid0(VALU_DEP_1) | instskip(NEXT) | instid1(VALU_DEP_1)
	v_lshrrev_b16 v6, 8, v6
	v_mul_lo_u16 v6, v6, 6
	s_delay_alu instid0(VALU_DEP_1) | instskip(NEXT) | instid1(VALU_DEP_1)
	v_sub_nc_u16 v5, v5, v6
	v_and_b32_e32 v7, 0xff, v5
.LBB39_7:
	s_ashr_i32 s9, s8, 31
	v_mov_b32_e32 v5, 0
	s_lshl_b64 s[4:5], s[8:9], 2
	v_mov_b32_e32 v6, 0
	s_add_u32 s2, s2, s4
	s_addc_u32 s3, s3, s5
	s_load_b64 s[12:13], s[2:3], 0x0
	s_load_b64 s[2:3], s[0:1], 0x40
	s_waitcnt lgkmcnt(0)
	s_cmp_ge_i32 s12, s13
	s_cbranch_scc1 .LBB39_12
; %bb.8:
	s_clause 0x1
	s_load_b128 s[4:7], s[0:1], 0x18
	s_load_b64 s[0:1], s[0:1], 0x30
	v_mad_u64_u32 v[5:6], null, 0x4e, s12, v[0:1]
	v_mul_u32_u24_e32 v6, 0x349, v8
	s_mul_i32 s9, s10, 0x4e
	s_sub_i32 s12, s12, s10
	v_mov_b32_e32 v9, 0
	s_delay_alu instid0(VALU_DEP_2) | instskip(NEXT) | instid1(VALU_DEP_4)
	v_lshrrev_b32_e32 v13, 16, v6
	v_subrev_nc_u32_e32 v8, s9, v5
	v_mov_b32_e32 v5, 0
	v_mov_b32_e32 v6, 0
	s_sub_i32 s9, s13, s10
	s_set_inst_prefetch_distance 0x1
	s_branch .LBB39_10
	.p2align	6
.LBB39_9:                               ;   in Loop: Header=BB39_10 Depth=1
	s_or_b32 exec_lo, exec_lo, s13
	v_add_nc_u32_e32 v8, 0x4e, v8
	s_add_i32 s12, s12, 1
	s_delay_alu instid0(SALU_CYCLE_1)
	s_cmp_ge_i32 s12, s9
	s_cbranch_scc1 .LBB39_12
.LBB39_10:                              ; =>This Inner Loop Header: Depth=1
	v_add_nc_u32_e32 v10, s12, v13
	s_mov_b32 s13, exec_lo
	s_delay_alu instid0(VALU_DEP_1)
	v_cmpx_gt_i32_e64 s9, v10
	s_cbranch_execz .LBB39_9
; %bb.11:                               ;   in Loop: Header=BB39_10 Depth=1
	v_ashrrev_i32_e32 v11, 31, v10
	s_delay_alu instid0(VALU_DEP_1) | instskip(SKIP_1) | instid1(VALU_DEP_1)
	v_lshlrev_b64 v[10:11], 2, v[10:11]
	s_waitcnt lgkmcnt(0)
	v_add_co_u32 v10, vcc_lo, s4, v10
	s_delay_alu instid0(VALU_DEP_2) | instskip(SKIP_3) | instid1(VALU_DEP_1)
	v_add_co_ci_u32_e32 v11, vcc_lo, s5, v11, vcc_lo
	global_load_b32 v10, v[10:11], off
	s_waitcnt vmcnt(0)
	v_subrev_nc_u32_e32 v14, s10, v10
	v_mad_u64_u32 v[10:11], null, v14, 6, v[7:8]
	v_lshlrev_b64 v[14:15], 3, v[8:9]
	s_delay_alu instid0(VALU_DEP_1) | instskip(NEXT) | instid1(VALU_DEP_3)
	v_add_co_u32 v14, vcc_lo, s6, v14
	v_ashrrev_i32_e32 v11, 31, v10
	s_delay_alu instid0(VALU_DEP_3) | instskip(NEXT) | instid1(VALU_DEP_2)
	v_add_co_ci_u32_e32 v15, vcc_lo, s7, v15, vcc_lo
	v_lshlrev_b64 v[10:11], 3, v[10:11]
	s_delay_alu instid0(VALU_DEP_1) | instskip(NEXT) | instid1(VALU_DEP_2)
	v_add_co_u32 v10, vcc_lo, s0, v10
	v_add_co_ci_u32_e32 v11, vcc_lo, s1, v11, vcc_lo
	global_load_b64 v[14:15], v[14:15], off
	global_load_b64 v[10:11], v[10:11], off
	s_waitcnt vmcnt(0)
	v_fma_f64 v[5:6], v[14:15], v[10:11], v[5:6]
	s_branch .LBB39_9
.LBB39_12:
	s_set_inst_prefetch_distance 0x2
	v_lshlrev_b32_e32 v9, 3, v0
	s_and_b32 vcc_lo, exec_lo, s11
	ds_store_b64 v9, v[5:6]
	s_waitcnt lgkmcnt(0)
	s_barrier
	buffer_gl0_inv
	s_cbranch_vccz .LBB39_22
; %bb.13:
	v_cmp_gt_u16_e32 vcc_lo, 2, v12
	s_and_saveexec_b32 s0, vcc_lo
	s_cbranch_execz .LBB39_15
; %bb.14:
	ds_load_2addr_b64 v[13:16], v9 offset1:4
	s_waitcnt lgkmcnt(0)
	v_add_f64 v[7:8], v[15:16], v[13:14]
	ds_store_b64 v9, v[7:8]
.LBB39_15:
	s_or_b32 exec_lo, exec_lo, s0
	s_waitcnt lgkmcnt(0)
	s_barrier
	buffer_gl0_inv
	s_and_saveexec_b32 s0, vcc_lo
	s_cbranch_execz .LBB39_17
; %bb.16:
	ds_load_2addr_b64 v[13:16], v9 offset1:2
	s_waitcnt lgkmcnt(0)
	v_add_f64 v[7:8], v[15:16], v[13:14]
	ds_store_b64 v9, v[7:8]
.LBB39_17:
	s_or_b32 exec_lo, exec_lo, s0
	s_delay_alu instid0(SALU_CYCLE_1)
	s_mov_b32 s0, exec_lo
	s_waitcnt lgkmcnt(0)
	s_barrier
	buffer_gl0_inv
	v_cmpx_eq_u16_e32 0, v12
	s_cbranch_execz .LBB39_19
; %bb.18:
	ds_load_2addr_b64 v[10:13], v9 offset1:1
	s_waitcnt lgkmcnt(0)
	v_add_f64 v[7:8], v[12:13], v[10:11]
	ds_store_b64 v9, v[7:8]
.LBB39_19:
	s_or_b32 exec_lo, exec_lo, s0
	v_dual_mov_b32 v8, v6 :: v_dual_mov_b32 v7, v5
	s_mov_b32 s0, exec_lo
	s_waitcnt lgkmcnt(0)
	s_barrier
	buffer_gl0_inv
	v_cmpx_gt_u32_e32 13, v0
	s_cbranch_execz .LBB39_21
; %bb.20:
	v_mad_u32_u24 v7, v0, 40, v9
	ds_load_b64 v[7:8], v7
.LBB39_21:
	s_or_b32 exec_lo, exec_lo, s0
	s_branch .LBB39_32
.LBB39_22:
                                        ; implicit-def: $vgpr7_vgpr8
	s_cbranch_execz .LBB39_32
; %bb.23:
	v_cmp_gt_u32_e32 vcc_lo, 26, v0
	s_and_saveexec_b32 s0, vcc_lo
	s_cbranch_execz .LBB39_25
; %bb.24:
	ds_load_2addr_b64 v[10:13], v9 offset1:52
	s_waitcnt lgkmcnt(0)
	v_add_f64 v[7:8], v[12:13], v[10:11]
	ds_store_b64 v9, v[7:8]
.LBB39_25:
	s_or_b32 exec_lo, exec_lo, s0
	s_waitcnt lgkmcnt(0)
	s_barrier
	buffer_gl0_inv
	s_and_saveexec_b32 s0, vcc_lo
	s_cbranch_execz .LBB39_27
; %bb.26:
	ds_load_2addr_b64 v[10:13], v9 offset1:26
	s_waitcnt lgkmcnt(0)
	v_add_f64 v[7:8], v[12:13], v[10:11]
	ds_store_b64 v9, v[7:8]
.LBB39_27:
	s_or_b32 exec_lo, exec_lo, s0
	s_delay_alu instid0(SALU_CYCLE_1)
	s_mov_b32 s0, exec_lo
	s_waitcnt lgkmcnt(0)
	buffer_gl0_inv
	v_cmpx_lt_u32_e32 12, v0
	s_xor_b32 s0, exec_lo, s0
	s_cbranch_execz .LBB39_29
; %bb.28:
	buffer_gl0_inv
                                        ; implicit-def: $vgpr9
.LBB39_29:
	s_and_not1_saveexec_b32 s0, s0
	s_cbranch_execz .LBB39_31
; %bb.30:
	ds_load_2addr_b64 v[5:8], v9 offset1:13
	s_waitcnt lgkmcnt(0)
	v_add_f64 v[5:6], v[7:8], v[5:6]
	ds_store_b64 v9, v[5:6]
	s_waitcnt lgkmcnt(0)
	buffer_gl0_inv
	ds_load_b64 v[5:6], v9
.LBB39_31:
	s_or_b32 exec_lo, exec_lo, s0
	s_waitcnt lgkmcnt(0)
	v_dual_mov_b32 v8, v6 :: v_dual_mov_b32 v7, v5
.LBB39_32:
	v_cmp_gt_u32_e32 vcc_lo, 13, v0
	s_and_b32 exec_lo, exec_lo, vcc_lo
	s_cbranch_execz .LBB39_37
; %bb.33:
	s_waitcnt lgkmcnt(0)
	v_mul_f64 v[3:4], v[3:4], v[7:8]
	s_mov_b32 s0, exec_lo
	v_cmpx_eq_f64_e32 0, v[1:2]
	s_xor_b32 s0, exec_lo, s0
	s_cbranch_execz .LBB39_35
; %bb.34:
	v_mad_u64_u32 v[1:2], null, s8, 13, v[0:1]
	v_mov_b32_e32 v2, 0
	s_delay_alu instid0(VALU_DEP_1) | instskip(NEXT) | instid1(VALU_DEP_1)
	v_lshlrev_b64 v[0:1], 3, v[1:2]
	v_add_co_u32 v0, vcc_lo, s2, v0
	s_delay_alu instid0(VALU_DEP_2)
	v_add_co_ci_u32_e32 v1, vcc_lo, s3, v1, vcc_lo
	global_store_b64 v[0:1], v[3:4], off
                                        ; implicit-def: $vgpr0
                                        ; implicit-def: $vgpr1_vgpr2
                                        ; implicit-def: $vgpr3_vgpr4
.LBB39_35:
	s_and_not1_saveexec_b32 s0, s0
	s_cbranch_execz .LBB39_37
; %bb.36:
	v_mad_u64_u32 v[5:6], null, s8, 13, v[0:1]
	v_mov_b32_e32 v6, 0
	s_delay_alu instid0(VALU_DEP_1) | instskip(NEXT) | instid1(VALU_DEP_1)
	v_lshlrev_b64 v[5:6], 3, v[5:6]
	v_add_co_u32 v5, vcc_lo, s2, v5
	s_delay_alu instid0(VALU_DEP_2)
	v_add_co_ci_u32_e32 v6, vcc_lo, s3, v6, vcc_lo
	global_load_b64 v[7:8], v[5:6], off
	s_waitcnt vmcnt(0)
	v_fma_f64 v[0:1], v[1:2], v[7:8], v[3:4]
	global_store_b64 v[5:6], v[0:1], off
.LBB39_37:
	s_nop 0
	s_sendmsg sendmsg(MSG_DEALLOC_VGPRS)
	s_endpgm
	.section	.rodata,"a",@progbits
	.p2align	6, 0x0
	.amdhsa_kernel _ZN9rocsparseL22gebsrmvn_mxn_16_kernelILj78ELj13ELj6EdEEvi20rocsparse_direction_NS_24const_host_device_scalarIT2_EEPKiS6_PKS3_iiS8_S4_PS3_21rocsparse_index_base_b
		.amdhsa_group_segment_fixed_size 624
		.amdhsa_private_segment_fixed_size 0
		.amdhsa_kernarg_size 80
		.amdhsa_user_sgpr_count 15
		.amdhsa_user_sgpr_dispatch_ptr 0
		.amdhsa_user_sgpr_queue_ptr 0
		.amdhsa_user_sgpr_kernarg_segment_ptr 1
		.amdhsa_user_sgpr_dispatch_id 0
		.amdhsa_user_sgpr_private_segment_size 0
		.amdhsa_wavefront_size32 1
		.amdhsa_uses_dynamic_stack 0
		.amdhsa_enable_private_segment 0
		.amdhsa_system_sgpr_workgroup_id_x 1
		.amdhsa_system_sgpr_workgroup_id_y 0
		.amdhsa_system_sgpr_workgroup_id_z 0
		.amdhsa_system_sgpr_workgroup_info 0
		.amdhsa_system_vgpr_workitem_id 0
		.amdhsa_next_free_vgpr 17
		.amdhsa_next_free_sgpr 16
		.amdhsa_reserve_vcc 1
		.amdhsa_float_round_mode_32 0
		.amdhsa_float_round_mode_16_64 0
		.amdhsa_float_denorm_mode_32 3
		.amdhsa_float_denorm_mode_16_64 3
		.amdhsa_dx10_clamp 1
		.amdhsa_ieee_mode 1
		.amdhsa_fp16_overflow 0
		.amdhsa_workgroup_processor_mode 1
		.amdhsa_memory_ordered 1
		.amdhsa_forward_progress 0
		.amdhsa_shared_vgpr_count 0
		.amdhsa_exception_fp_ieee_invalid_op 0
		.amdhsa_exception_fp_denorm_src 0
		.amdhsa_exception_fp_ieee_div_zero 0
		.amdhsa_exception_fp_ieee_overflow 0
		.amdhsa_exception_fp_ieee_underflow 0
		.amdhsa_exception_fp_ieee_inexact 0
		.amdhsa_exception_int_div_zero 0
	.end_amdhsa_kernel
	.section	.text._ZN9rocsparseL22gebsrmvn_mxn_16_kernelILj78ELj13ELj6EdEEvi20rocsparse_direction_NS_24const_host_device_scalarIT2_EEPKiS6_PKS3_iiS8_S4_PS3_21rocsparse_index_base_b,"axG",@progbits,_ZN9rocsparseL22gebsrmvn_mxn_16_kernelILj78ELj13ELj6EdEEvi20rocsparse_direction_NS_24const_host_device_scalarIT2_EEPKiS6_PKS3_iiS8_S4_PS3_21rocsparse_index_base_b,comdat
.Lfunc_end39:
	.size	_ZN9rocsparseL22gebsrmvn_mxn_16_kernelILj78ELj13ELj6EdEEvi20rocsparse_direction_NS_24const_host_device_scalarIT2_EEPKiS6_PKS3_iiS8_S4_PS3_21rocsparse_index_base_b, .Lfunc_end39-_ZN9rocsparseL22gebsrmvn_mxn_16_kernelILj78ELj13ELj6EdEEvi20rocsparse_direction_NS_24const_host_device_scalarIT2_EEPKiS6_PKS3_iiS8_S4_PS3_21rocsparse_index_base_b
                                        ; -- End function
	.section	.AMDGPU.csdata,"",@progbits
; Kernel info:
; codeLenInByte = 1304
; NumSgprs: 18
; NumVgprs: 17
; ScratchSize: 0
; MemoryBound: 0
; FloatMode: 240
; IeeeMode: 1
; LDSByteSize: 624 bytes/workgroup (compile time only)
; SGPRBlocks: 2
; VGPRBlocks: 2
; NumSGPRsForWavesPerEU: 18
; NumVGPRsForWavesPerEU: 17
; Occupancy: 16
; WaveLimiterHint : 1
; COMPUTE_PGM_RSRC2:SCRATCH_EN: 0
; COMPUTE_PGM_RSRC2:USER_SGPR: 15
; COMPUTE_PGM_RSRC2:TRAP_HANDLER: 0
; COMPUTE_PGM_RSRC2:TGID_X_EN: 1
; COMPUTE_PGM_RSRC2:TGID_Y_EN: 0
; COMPUTE_PGM_RSRC2:TGID_Z_EN: 0
; COMPUTE_PGM_RSRC2:TIDIG_COMP_CNT: 0
	.section	.text._ZN9rocsparseL22gebsrmvn_mxn_16_kernelILj91ELj13ELj7EdEEvi20rocsparse_direction_NS_24const_host_device_scalarIT2_EEPKiS6_PKS3_iiS8_S4_PS3_21rocsparse_index_base_b,"axG",@progbits,_ZN9rocsparseL22gebsrmvn_mxn_16_kernelILj91ELj13ELj7EdEEvi20rocsparse_direction_NS_24const_host_device_scalarIT2_EEPKiS6_PKS3_iiS8_S4_PS3_21rocsparse_index_base_b,comdat
	.globl	_ZN9rocsparseL22gebsrmvn_mxn_16_kernelILj91ELj13ELj7EdEEvi20rocsparse_direction_NS_24const_host_device_scalarIT2_EEPKiS6_PKS3_iiS8_S4_PS3_21rocsparse_index_base_b ; -- Begin function _ZN9rocsparseL22gebsrmvn_mxn_16_kernelILj91ELj13ELj7EdEEvi20rocsparse_direction_NS_24const_host_device_scalarIT2_EEPKiS6_PKS3_iiS8_S4_PS3_21rocsparse_index_base_b
	.p2align	8
	.type	_ZN9rocsparseL22gebsrmvn_mxn_16_kernelILj91ELj13ELj7EdEEvi20rocsparse_direction_NS_24const_host_device_scalarIT2_EEPKiS6_PKS3_iiS8_S4_PS3_21rocsparse_index_base_b,@function
_ZN9rocsparseL22gebsrmvn_mxn_16_kernelILj91ELj13ELj7EdEEvi20rocsparse_direction_NS_24const_host_device_scalarIT2_EEPKiS6_PKS3_iiS8_S4_PS3_21rocsparse_index_base_b: ; @_ZN9rocsparseL22gebsrmvn_mxn_16_kernelILj91ELj13ELj7EdEEvi20rocsparse_direction_NS_24const_host_device_scalarIT2_EEPKiS6_PKS3_iiS8_S4_PS3_21rocsparse_index_base_b
; %bb.0:
	s_clause 0x2
	s_load_b64 s[10:11], s[0:1], 0x48
	s_load_b64 s[4:5], s[0:1], 0x8
	;; [unrolled: 1-line block ×3, first 2 shown]
	s_mov_b32 s8, s15
	s_waitcnt lgkmcnt(0)
	s_bitcmp1_b32 s11, 0
	v_dual_mov_b32 v3, s4 :: v_dual_mov_b32 v4, s5
	s_cselect_b32 s6, -1, 0
	s_delay_alu instid0(SALU_CYCLE_1)
	s_and_b32 vcc_lo, exec_lo, s6
	s_xor_b32 s6, s6, -1
	s_cbranch_vccnz .LBB40_2
; %bb.1:
	v_dual_mov_b32 v1, s4 :: v_dual_mov_b32 v2, s5
	flat_load_b64 v[3:4], v[1:2]
.LBB40_2:
	v_dual_mov_b32 v1, s2 :: v_dual_mov_b32 v2, s3
	s_and_not1_b32 vcc_lo, exec_lo, s6
	s_cbranch_vccnz .LBB40_4
; %bb.3:
	v_dual_mov_b32 v1, s2 :: v_dual_mov_b32 v2, s3
	flat_load_b64 v[1:2], v[1:2]
.LBB40_4:
	s_waitcnt vmcnt(0) lgkmcnt(0)
	v_cmp_neq_f64_e32 vcc_lo, 0, v[3:4]
	v_cmp_neq_f64_e64 s2, 1.0, v[1:2]
	s_delay_alu instid0(VALU_DEP_1) | instskip(NEXT) | instid1(SALU_CYCLE_1)
	s_or_b32 s2, vcc_lo, s2
	s_and_saveexec_b32 s3, s2
	s_cbranch_execz .LBB40_37
; %bb.5:
	v_mul_u32_u24_e32 v5, 0x2493, v0
	s_clause 0x1
	s_load_b32 s4, s[0:1], 0x4
	s_load_b64 s[2:3], s[0:1], 0x10
	s_delay_alu instid0(VALU_DEP_1) | instskip(NEXT) | instid1(VALU_DEP_1)
	v_lshrrev_b32_e32 v5, 16, v5
	v_mul_lo_u16 v5, v5, 7
	s_delay_alu instid0(VALU_DEP_1) | instskip(NEXT) | instid1(VALU_DEP_1)
	v_sub_nc_u16 v5, v0, v5
	v_and_b32_e32 v12, 0xffff, v5
	s_waitcnt lgkmcnt(0)
	s_cmp_lg_u32 s4, 1
	v_and_b32_e32 v8, 0xffff, v0
	s_cselect_b32 s11, -1, 0
	v_mov_b32_e32 v7, v12
	s_and_b32 vcc_lo, exec_lo, s11
	s_cbranch_vccnz .LBB40_7
; %bb.6:
	v_mul_u32_u24_e32 v5, 0x13b2, v8
	s_delay_alu instid0(VALU_DEP_1) | instskip(NEXT) | instid1(VALU_DEP_1)
	v_lshrrev_b32_e32 v5, 16, v5
	v_mul_lo_u16 v6, v5, 37
	s_delay_alu instid0(VALU_DEP_1) | instskip(NEXT) | instid1(VALU_DEP_1)
	v_lshrrev_b16 v6, 8, v6
	v_mul_lo_u16 v6, v6, 7
	s_delay_alu instid0(VALU_DEP_1) | instskip(NEXT) | instid1(VALU_DEP_1)
	v_sub_nc_u16 v5, v5, v6
	v_and_b32_e32 v7, 0xff, v5
.LBB40_7:
	s_ashr_i32 s9, s8, 31
	v_mov_b32_e32 v5, 0
	s_lshl_b64 s[4:5], s[8:9], 2
	v_mov_b32_e32 v6, 0
	s_add_u32 s2, s2, s4
	s_addc_u32 s3, s3, s5
	s_load_b64 s[12:13], s[2:3], 0x0
	s_load_b64 s[2:3], s[0:1], 0x40
	s_waitcnt lgkmcnt(0)
	s_cmp_ge_i32 s12, s13
	s_cbranch_scc1 .LBB40_12
; %bb.8:
	s_clause 0x1
	s_load_b128 s[4:7], s[0:1], 0x18
	s_load_b64 s[0:1], s[0:1], 0x30
	v_mad_u64_u32 v[5:6], null, 0x5b, s12, v[0:1]
	v_mul_u32_u24_e32 v6, 0x2d1, v8
	s_mul_i32 s9, s10, 0x5b
	s_sub_i32 s12, s12, s10
	v_mov_b32_e32 v9, 0
	s_delay_alu instid0(VALU_DEP_2) | instskip(NEXT) | instid1(VALU_DEP_4)
	v_lshrrev_b32_e32 v13, 16, v6
	v_subrev_nc_u32_e32 v8, s9, v5
	v_mov_b32_e32 v5, 0
	v_mov_b32_e32 v6, 0
	s_sub_i32 s9, s13, s10
	s_set_inst_prefetch_distance 0x1
	s_branch .LBB40_10
	.p2align	6
.LBB40_9:                               ;   in Loop: Header=BB40_10 Depth=1
	s_or_b32 exec_lo, exec_lo, s13
	v_add_nc_u32_e32 v8, 0x5b, v8
	s_add_i32 s12, s12, 1
	s_delay_alu instid0(SALU_CYCLE_1)
	s_cmp_ge_i32 s12, s9
	s_cbranch_scc1 .LBB40_12
.LBB40_10:                              ; =>This Inner Loop Header: Depth=1
	v_add_nc_u32_e32 v10, s12, v13
	s_mov_b32 s13, exec_lo
	s_delay_alu instid0(VALU_DEP_1)
	v_cmpx_gt_i32_e64 s9, v10
	s_cbranch_execz .LBB40_9
; %bb.11:                               ;   in Loop: Header=BB40_10 Depth=1
	v_ashrrev_i32_e32 v11, 31, v10
	s_delay_alu instid0(VALU_DEP_1) | instskip(SKIP_1) | instid1(VALU_DEP_1)
	v_lshlrev_b64 v[10:11], 2, v[10:11]
	s_waitcnt lgkmcnt(0)
	v_add_co_u32 v10, vcc_lo, s4, v10
	s_delay_alu instid0(VALU_DEP_2) | instskip(SKIP_3) | instid1(VALU_DEP_1)
	v_add_co_ci_u32_e32 v11, vcc_lo, s5, v11, vcc_lo
	global_load_b32 v10, v[10:11], off
	s_waitcnt vmcnt(0)
	v_subrev_nc_u32_e32 v14, s10, v10
	v_mad_u64_u32 v[10:11], null, v14, 7, v[7:8]
	v_lshlrev_b64 v[14:15], 3, v[8:9]
	s_delay_alu instid0(VALU_DEP_1) | instskip(NEXT) | instid1(VALU_DEP_3)
	v_add_co_u32 v14, vcc_lo, s6, v14
	v_ashrrev_i32_e32 v11, 31, v10
	s_delay_alu instid0(VALU_DEP_3) | instskip(NEXT) | instid1(VALU_DEP_2)
	v_add_co_ci_u32_e32 v15, vcc_lo, s7, v15, vcc_lo
	v_lshlrev_b64 v[10:11], 3, v[10:11]
	s_delay_alu instid0(VALU_DEP_1) | instskip(NEXT) | instid1(VALU_DEP_2)
	v_add_co_u32 v10, vcc_lo, s0, v10
	v_add_co_ci_u32_e32 v11, vcc_lo, s1, v11, vcc_lo
	global_load_b64 v[14:15], v[14:15], off
	global_load_b64 v[10:11], v[10:11], off
	s_waitcnt vmcnt(0)
	v_fma_f64 v[5:6], v[14:15], v[10:11], v[5:6]
	s_branch .LBB40_9
.LBB40_12:
	s_set_inst_prefetch_distance 0x2
	v_lshlrev_b32_e32 v9, 3, v0
	s_and_b32 vcc_lo, exec_lo, s11
	ds_store_b64 v9, v[5:6]
	s_waitcnt lgkmcnt(0)
	s_barrier
	buffer_gl0_inv
	s_cbranch_vccz .LBB40_22
; %bb.13:
	s_mov_b32 s0, exec_lo
	v_cmpx_gt_u16_e32 3, v12
	s_cbranch_execz .LBB40_15
; %bb.14:
	ds_load_2addr_b64 v[13:16], v9 offset1:4
	s_waitcnt lgkmcnt(0)
	v_add_f64 v[7:8], v[15:16], v[13:14]
	ds_store_b64 v9, v[7:8]
.LBB40_15:
	s_or_b32 exec_lo, exec_lo, s0
	s_delay_alu instid0(SALU_CYCLE_1)
	s_mov_b32 s0, exec_lo
	s_waitcnt lgkmcnt(0)
	s_barrier
	buffer_gl0_inv
	v_cmpx_gt_u16_e32 2, v12
	s_cbranch_execz .LBB40_17
; %bb.16:
	ds_load_2addr_b64 v[13:16], v9 offset1:2
	s_waitcnt lgkmcnt(0)
	v_add_f64 v[7:8], v[15:16], v[13:14]
	ds_store_b64 v9, v[7:8]
.LBB40_17:
	s_or_b32 exec_lo, exec_lo, s0
	s_delay_alu instid0(SALU_CYCLE_1)
	s_mov_b32 s0, exec_lo
	s_waitcnt lgkmcnt(0)
	s_barrier
	buffer_gl0_inv
	v_cmpx_eq_u16_e32 0, v12
	s_cbranch_execz .LBB40_19
; %bb.18:
	ds_load_2addr_b64 v[10:13], v9 offset1:1
	s_waitcnt lgkmcnt(0)
	v_add_f64 v[7:8], v[12:13], v[10:11]
	ds_store_b64 v9, v[7:8]
.LBB40_19:
	s_or_b32 exec_lo, exec_lo, s0
	v_dual_mov_b32 v8, v6 :: v_dual_mov_b32 v7, v5
	s_mov_b32 s0, exec_lo
	s_waitcnt lgkmcnt(0)
	s_barrier
	buffer_gl0_inv
	v_cmpx_gt_u32_e32 13, v0
	s_cbranch_execz .LBB40_21
; %bb.20:
	v_mad_u32_u24 v7, v0, 48, v9
	ds_load_b64 v[7:8], v7
.LBB40_21:
	s_or_b32 exec_lo, exec_lo, s0
	s_branch .LBB40_32
.LBB40_22:
                                        ; implicit-def: $vgpr7_vgpr8
	s_cbranch_execz .LBB40_32
; %bb.23:
	s_mov_b32 s0, exec_lo
	v_cmpx_gt_u32_e32 39, v0
	s_cbranch_execz .LBB40_25
; %bb.24:
	ds_load_2addr_b64 v[10:13], v9 offset1:52
	s_waitcnt lgkmcnt(0)
	v_add_f64 v[7:8], v[12:13], v[10:11]
	ds_store_b64 v9, v[7:8]
.LBB40_25:
	s_or_b32 exec_lo, exec_lo, s0
	s_delay_alu instid0(SALU_CYCLE_1)
	s_mov_b32 s0, exec_lo
	s_waitcnt lgkmcnt(0)
	s_barrier
	buffer_gl0_inv
	v_cmpx_gt_u32_e32 26, v0
	s_cbranch_execz .LBB40_27
; %bb.26:
	ds_load_2addr_b64 v[10:13], v9 offset1:26
	s_waitcnt lgkmcnt(0)
	v_add_f64 v[7:8], v[12:13], v[10:11]
	ds_store_b64 v9, v[7:8]
.LBB40_27:
	s_or_b32 exec_lo, exec_lo, s0
	s_delay_alu instid0(SALU_CYCLE_1)
	s_mov_b32 s0, exec_lo
	s_waitcnt lgkmcnt(0)
	buffer_gl0_inv
	v_cmpx_lt_u32_e32 12, v0
	s_xor_b32 s0, exec_lo, s0
	s_cbranch_execz .LBB40_29
; %bb.28:
	buffer_gl0_inv
                                        ; implicit-def: $vgpr9
.LBB40_29:
	s_and_not1_saveexec_b32 s0, s0
	s_cbranch_execz .LBB40_31
; %bb.30:
	ds_load_2addr_b64 v[5:8], v9 offset1:13
	s_waitcnt lgkmcnt(0)
	v_add_f64 v[5:6], v[7:8], v[5:6]
	ds_store_b64 v9, v[5:6]
	s_waitcnt lgkmcnt(0)
	buffer_gl0_inv
	ds_load_b64 v[5:6], v9
.LBB40_31:
	s_or_b32 exec_lo, exec_lo, s0
	s_waitcnt lgkmcnt(0)
	v_dual_mov_b32 v8, v6 :: v_dual_mov_b32 v7, v5
.LBB40_32:
	v_cmp_gt_u32_e32 vcc_lo, 13, v0
	s_and_b32 exec_lo, exec_lo, vcc_lo
	s_cbranch_execz .LBB40_37
; %bb.33:
	s_waitcnt lgkmcnt(0)
	v_mul_f64 v[3:4], v[3:4], v[7:8]
	s_mov_b32 s0, exec_lo
	v_cmpx_eq_f64_e32 0, v[1:2]
	s_xor_b32 s0, exec_lo, s0
	s_cbranch_execz .LBB40_35
; %bb.34:
	v_mad_u64_u32 v[1:2], null, s8, 13, v[0:1]
	v_mov_b32_e32 v2, 0
	s_delay_alu instid0(VALU_DEP_1) | instskip(NEXT) | instid1(VALU_DEP_1)
	v_lshlrev_b64 v[0:1], 3, v[1:2]
	v_add_co_u32 v0, vcc_lo, s2, v0
	s_delay_alu instid0(VALU_DEP_2)
	v_add_co_ci_u32_e32 v1, vcc_lo, s3, v1, vcc_lo
	global_store_b64 v[0:1], v[3:4], off
                                        ; implicit-def: $vgpr0
                                        ; implicit-def: $vgpr1_vgpr2
                                        ; implicit-def: $vgpr3_vgpr4
.LBB40_35:
	s_and_not1_saveexec_b32 s0, s0
	s_cbranch_execz .LBB40_37
; %bb.36:
	v_mad_u64_u32 v[5:6], null, s8, 13, v[0:1]
	v_mov_b32_e32 v6, 0
	s_delay_alu instid0(VALU_DEP_1) | instskip(NEXT) | instid1(VALU_DEP_1)
	v_lshlrev_b64 v[5:6], 3, v[5:6]
	v_add_co_u32 v5, vcc_lo, s2, v5
	s_delay_alu instid0(VALU_DEP_2)
	v_add_co_ci_u32_e32 v6, vcc_lo, s3, v6, vcc_lo
	global_load_b64 v[7:8], v[5:6], off
	s_waitcnt vmcnt(0)
	v_fma_f64 v[0:1], v[1:2], v[7:8], v[3:4]
	global_store_b64 v[5:6], v[0:1], off
.LBB40_37:
	s_nop 0
	s_sendmsg sendmsg(MSG_DEALLOC_VGPRS)
	s_endpgm
	.section	.rodata,"a",@progbits
	.p2align	6, 0x0
	.amdhsa_kernel _ZN9rocsparseL22gebsrmvn_mxn_16_kernelILj91ELj13ELj7EdEEvi20rocsparse_direction_NS_24const_host_device_scalarIT2_EEPKiS6_PKS3_iiS8_S4_PS3_21rocsparse_index_base_b
		.amdhsa_group_segment_fixed_size 728
		.amdhsa_private_segment_fixed_size 0
		.amdhsa_kernarg_size 80
		.amdhsa_user_sgpr_count 15
		.amdhsa_user_sgpr_dispatch_ptr 0
		.amdhsa_user_sgpr_queue_ptr 0
		.amdhsa_user_sgpr_kernarg_segment_ptr 1
		.amdhsa_user_sgpr_dispatch_id 0
		.amdhsa_user_sgpr_private_segment_size 0
		.amdhsa_wavefront_size32 1
		.amdhsa_uses_dynamic_stack 0
		.amdhsa_enable_private_segment 0
		.amdhsa_system_sgpr_workgroup_id_x 1
		.amdhsa_system_sgpr_workgroup_id_y 0
		.amdhsa_system_sgpr_workgroup_id_z 0
		.amdhsa_system_sgpr_workgroup_info 0
		.amdhsa_system_vgpr_workitem_id 0
		.amdhsa_next_free_vgpr 17
		.amdhsa_next_free_sgpr 16
		.amdhsa_reserve_vcc 1
		.amdhsa_float_round_mode_32 0
		.amdhsa_float_round_mode_16_64 0
		.amdhsa_float_denorm_mode_32 3
		.amdhsa_float_denorm_mode_16_64 3
		.amdhsa_dx10_clamp 1
		.amdhsa_ieee_mode 1
		.amdhsa_fp16_overflow 0
		.amdhsa_workgroup_processor_mode 1
		.amdhsa_memory_ordered 1
		.amdhsa_forward_progress 0
		.amdhsa_shared_vgpr_count 0
		.amdhsa_exception_fp_ieee_invalid_op 0
		.amdhsa_exception_fp_denorm_src 0
		.amdhsa_exception_fp_ieee_div_zero 0
		.amdhsa_exception_fp_ieee_overflow 0
		.amdhsa_exception_fp_ieee_underflow 0
		.amdhsa_exception_fp_ieee_inexact 0
		.amdhsa_exception_int_div_zero 0
	.end_amdhsa_kernel
	.section	.text._ZN9rocsparseL22gebsrmvn_mxn_16_kernelILj91ELj13ELj7EdEEvi20rocsparse_direction_NS_24const_host_device_scalarIT2_EEPKiS6_PKS3_iiS8_S4_PS3_21rocsparse_index_base_b,"axG",@progbits,_ZN9rocsparseL22gebsrmvn_mxn_16_kernelILj91ELj13ELj7EdEEvi20rocsparse_direction_NS_24const_host_device_scalarIT2_EEPKiS6_PKS3_iiS8_S4_PS3_21rocsparse_index_base_b,comdat
.Lfunc_end40:
	.size	_ZN9rocsparseL22gebsrmvn_mxn_16_kernelILj91ELj13ELj7EdEEvi20rocsparse_direction_NS_24const_host_device_scalarIT2_EEPKiS6_PKS3_iiS8_S4_PS3_21rocsparse_index_base_b, .Lfunc_end40-_ZN9rocsparseL22gebsrmvn_mxn_16_kernelILj91ELj13ELj7EdEEvi20rocsparse_direction_NS_24const_host_device_scalarIT2_EEPKiS6_PKS3_iiS8_S4_PS3_21rocsparse_index_base_b
                                        ; -- End function
	.section	.AMDGPU.csdata,"",@progbits
; Kernel info:
; codeLenInByte = 1320
; NumSgprs: 18
; NumVgprs: 17
; ScratchSize: 0
; MemoryBound: 0
; FloatMode: 240
; IeeeMode: 1
; LDSByteSize: 728 bytes/workgroup (compile time only)
; SGPRBlocks: 2
; VGPRBlocks: 2
; NumSGPRsForWavesPerEU: 18
; NumVGPRsForWavesPerEU: 17
; Occupancy: 16
; WaveLimiterHint : 1
; COMPUTE_PGM_RSRC2:SCRATCH_EN: 0
; COMPUTE_PGM_RSRC2:USER_SGPR: 15
; COMPUTE_PGM_RSRC2:TRAP_HANDLER: 0
; COMPUTE_PGM_RSRC2:TGID_X_EN: 1
; COMPUTE_PGM_RSRC2:TGID_Y_EN: 0
; COMPUTE_PGM_RSRC2:TGID_Z_EN: 0
; COMPUTE_PGM_RSRC2:TIDIG_COMP_CNT: 0
	.section	.text._ZN9rocsparseL22gebsrmvn_mxn_16_kernelILj104ELj13ELj8EdEEvi20rocsparse_direction_NS_24const_host_device_scalarIT2_EEPKiS6_PKS3_iiS8_S4_PS3_21rocsparse_index_base_b,"axG",@progbits,_ZN9rocsparseL22gebsrmvn_mxn_16_kernelILj104ELj13ELj8EdEEvi20rocsparse_direction_NS_24const_host_device_scalarIT2_EEPKiS6_PKS3_iiS8_S4_PS3_21rocsparse_index_base_b,comdat
	.globl	_ZN9rocsparseL22gebsrmvn_mxn_16_kernelILj104ELj13ELj8EdEEvi20rocsparse_direction_NS_24const_host_device_scalarIT2_EEPKiS6_PKS3_iiS8_S4_PS3_21rocsparse_index_base_b ; -- Begin function _ZN9rocsparseL22gebsrmvn_mxn_16_kernelILj104ELj13ELj8EdEEvi20rocsparse_direction_NS_24const_host_device_scalarIT2_EEPKiS6_PKS3_iiS8_S4_PS3_21rocsparse_index_base_b
	.p2align	8
	.type	_ZN9rocsparseL22gebsrmvn_mxn_16_kernelILj104ELj13ELj8EdEEvi20rocsparse_direction_NS_24const_host_device_scalarIT2_EEPKiS6_PKS3_iiS8_S4_PS3_21rocsparse_index_base_b,@function
_ZN9rocsparseL22gebsrmvn_mxn_16_kernelILj104ELj13ELj8EdEEvi20rocsparse_direction_NS_24const_host_device_scalarIT2_EEPKiS6_PKS3_iiS8_S4_PS3_21rocsparse_index_base_b: ; @_ZN9rocsparseL22gebsrmvn_mxn_16_kernelILj104ELj13ELj8EdEEvi20rocsparse_direction_NS_24const_host_device_scalarIT2_EEPKiS6_PKS3_iiS8_S4_PS3_21rocsparse_index_base_b
; %bb.0:
	s_clause 0x2
	s_load_b64 s[10:11], s[0:1], 0x48
	s_load_b64 s[4:5], s[0:1], 0x8
	;; [unrolled: 1-line block ×3, first 2 shown]
	s_mov_b32 s8, s15
	s_waitcnt lgkmcnt(0)
	s_bitcmp1_b32 s11, 0
	v_dual_mov_b32 v3, s4 :: v_dual_mov_b32 v4, s5
	s_cselect_b32 s6, -1, 0
	s_delay_alu instid0(SALU_CYCLE_1)
	s_and_b32 vcc_lo, exec_lo, s6
	s_xor_b32 s6, s6, -1
	s_cbranch_vccnz .LBB41_2
; %bb.1:
	v_dual_mov_b32 v1, s4 :: v_dual_mov_b32 v2, s5
	flat_load_b64 v[3:4], v[1:2]
.LBB41_2:
	v_dual_mov_b32 v1, s2 :: v_dual_mov_b32 v2, s3
	s_and_not1_b32 vcc_lo, exec_lo, s6
	s_cbranch_vccnz .LBB41_4
; %bb.3:
	v_dual_mov_b32 v1, s2 :: v_dual_mov_b32 v2, s3
	flat_load_b64 v[1:2], v[1:2]
.LBB41_4:
	s_waitcnt vmcnt(0) lgkmcnt(0)
	v_cmp_neq_f64_e32 vcc_lo, 0, v[3:4]
	v_cmp_neq_f64_e64 s2, 1.0, v[1:2]
	s_delay_alu instid0(VALU_DEP_1) | instskip(NEXT) | instid1(SALU_CYCLE_1)
	s_or_b32 s2, vcc_lo, s2
	s_and_saveexec_b32 s3, s2
	s_cbranch_execz .LBB41_37
; %bb.5:
	s_clause 0x1
	s_load_b32 s4, s[0:1], 0x4
	s_load_b64 s[2:3], s[0:1], 0x10
	v_and_b32_e32 v11, 7, v0
	s_delay_alu instid0(VALU_DEP_1) | instskip(SKIP_3) | instid1(SALU_CYCLE_1)
	v_mov_b32_e32 v12, v11
	s_waitcnt lgkmcnt(0)
	s_cmp_lg_u32 s4, 1
	s_cselect_b32 s11, -1, 0
	s_and_b32 vcc_lo, exec_lo, s11
	s_cbranch_vccnz .LBB41_7
; %bb.6:
	v_mul_u32_u24_e32 v5, 0x13b2, v0
	s_delay_alu instid0(VALU_DEP_1)
	v_bfe_u32 v12, v5, 16, 3
.LBB41_7:
	s_ashr_i32 s9, s8, 31
	v_mov_b32_e32 v5, 0
	s_lshl_b64 s[4:5], s[8:9], 2
	v_mov_b32_e32 v6, 0
	s_add_u32 s2, s2, s4
	s_addc_u32 s3, s3, s5
	s_load_b64 s[12:13], s[2:3], 0x0
	s_load_b64 s[2:3], s[0:1], 0x40
	s_waitcnt lgkmcnt(0)
	s_cmp_ge_i32 s12, s13
	s_cbranch_scc1 .LBB41_12
; %bb.8:
	s_clause 0x1
	s_load_b128 s[4:7], s[0:1], 0x18
	s_load_b64 s[0:1], s[0:1], 0x30
	v_mad_u64_u32 v[5:6], null, 0x68, s12, v[0:1]
	v_mul_u32_u24_e32 v6, 0x277, v0
	s_mul_i32 s9, s10, 0x68
	s_sub_i32 s12, s12, s10
	v_mov_b32_e32 v8, 0
	s_delay_alu instid0(VALU_DEP_2) | instskip(NEXT) | instid1(VALU_DEP_4)
	v_lshrrev_b32_e32 v13, 16, v6
	v_subrev_nc_u32_e32 v7, s9, v5
	v_mov_b32_e32 v5, 0
	v_mov_b32_e32 v6, 0
	s_sub_i32 s9, s13, s10
	s_set_inst_prefetch_distance 0x1
	s_branch .LBB41_10
	.p2align	6
.LBB41_9:                               ;   in Loop: Header=BB41_10 Depth=1
	s_or_b32 exec_lo, exec_lo, s13
	v_add_nc_u32_e32 v7, 0x68, v7
	s_add_i32 s12, s12, 1
	s_delay_alu instid0(SALU_CYCLE_1)
	s_cmp_ge_i32 s12, s9
	s_cbranch_scc1 .LBB41_12
.LBB41_10:                              ; =>This Inner Loop Header: Depth=1
	v_add_nc_u32_e32 v9, s12, v13
	s_mov_b32 s13, exec_lo
	s_delay_alu instid0(VALU_DEP_1)
	v_cmpx_gt_i32_e64 s9, v9
	s_cbranch_execz .LBB41_9
; %bb.11:                               ;   in Loop: Header=BB41_10 Depth=1
	v_ashrrev_i32_e32 v10, 31, v9
	v_lshlrev_b64 v[14:15], 3, v[7:8]
	s_delay_alu instid0(VALU_DEP_2) | instskip(SKIP_1) | instid1(VALU_DEP_1)
	v_lshlrev_b64 v[9:10], 2, v[9:10]
	s_waitcnt lgkmcnt(0)
	v_add_co_u32 v9, vcc_lo, s4, v9
	s_delay_alu instid0(VALU_DEP_2) | instskip(NEXT) | instid1(VALU_DEP_4)
	v_add_co_ci_u32_e32 v10, vcc_lo, s5, v10, vcc_lo
	v_add_co_u32 v14, vcc_lo, s6, v14
	v_add_co_ci_u32_e32 v15, vcc_lo, s7, v15, vcc_lo
	global_load_b32 v9, v[9:10], off
	s_waitcnt vmcnt(0)
	v_subrev_nc_u32_e32 v9, s10, v9
	s_delay_alu instid0(VALU_DEP_1) | instskip(NEXT) | instid1(VALU_DEP_1)
	v_lshl_or_b32 v9, v9, 3, v12
	v_ashrrev_i32_e32 v10, 31, v9
	s_delay_alu instid0(VALU_DEP_1) | instskip(NEXT) | instid1(VALU_DEP_1)
	v_lshlrev_b64 v[9:10], 3, v[9:10]
	v_add_co_u32 v9, vcc_lo, s0, v9
	s_delay_alu instid0(VALU_DEP_2)
	v_add_co_ci_u32_e32 v10, vcc_lo, s1, v10, vcc_lo
	global_load_b64 v[14:15], v[14:15], off
	global_load_b64 v[9:10], v[9:10], off
	s_waitcnt vmcnt(0)
	v_fma_f64 v[5:6], v[14:15], v[9:10], v[5:6]
	s_branch .LBB41_9
.LBB41_12:
	s_set_inst_prefetch_distance 0x2
	v_lshlrev_b32_e32 v9, 3, v0
	s_and_b32 vcc_lo, exec_lo, s11
	ds_store_b64 v9, v[5:6]
	s_waitcnt lgkmcnt(0)
	s_barrier
	buffer_gl0_inv
	s_cbranch_vccz .LBB41_22
; %bb.13:
	s_mov_b32 s0, exec_lo
	v_cmpx_gt_u32_e32 4, v11
	s_cbranch_execz .LBB41_15
; %bb.14:
	ds_load_2addr_b64 v[12:15], v9 offset1:4
	s_waitcnt lgkmcnt(0)
	v_add_f64 v[7:8], v[14:15], v[12:13]
	ds_store_b64 v9, v[7:8]
.LBB41_15:
	s_or_b32 exec_lo, exec_lo, s0
	s_delay_alu instid0(SALU_CYCLE_1)
	s_mov_b32 s0, exec_lo
	s_waitcnt lgkmcnt(0)
	s_barrier
	buffer_gl0_inv
	v_cmpx_gt_u32_e32 2, v11
	s_cbranch_execz .LBB41_17
; %bb.16:
	ds_load_2addr_b64 v[12:15], v9 offset1:2
	s_waitcnt lgkmcnt(0)
	v_add_f64 v[7:8], v[14:15], v[12:13]
	ds_store_b64 v9, v[7:8]
.LBB41_17:
	s_or_b32 exec_lo, exec_lo, s0
	s_delay_alu instid0(SALU_CYCLE_1)
	s_mov_b32 s0, exec_lo
	s_waitcnt lgkmcnt(0)
	s_barrier
	buffer_gl0_inv
	v_cmpx_eq_u32_e32 0, v11
	s_cbranch_execz .LBB41_19
; %bb.18:
	ds_load_2addr_b64 v[10:13], v9 offset1:1
	s_waitcnt lgkmcnt(0)
	v_add_f64 v[7:8], v[12:13], v[10:11]
	ds_store_b64 v9, v[7:8]
.LBB41_19:
	s_or_b32 exec_lo, exec_lo, s0
	v_dual_mov_b32 v8, v6 :: v_dual_mov_b32 v7, v5
	s_mov_b32 s0, exec_lo
	s_waitcnt lgkmcnt(0)
	s_barrier
	buffer_gl0_inv
	v_cmpx_gt_u32_e32 13, v0
	s_cbranch_execz .LBB41_21
; %bb.20:
	v_mad_u32_u24 v7, v0, 56, v9
	ds_load_b64 v[7:8], v7
.LBB41_21:
	s_or_b32 exec_lo, exec_lo, s0
	s_branch .LBB41_32
.LBB41_22:
                                        ; implicit-def: $vgpr7_vgpr8
	s_cbranch_execz .LBB41_32
; %bb.23:
	s_mov_b32 s0, exec_lo
	v_cmpx_gt_u32_e32 52, v0
	s_cbranch_execz .LBB41_25
; %bb.24:
	ds_load_2addr_b64 v[10:13], v9 offset1:52
	s_waitcnt lgkmcnt(0)
	v_add_f64 v[7:8], v[12:13], v[10:11]
	ds_store_b64 v9, v[7:8]
.LBB41_25:
	s_or_b32 exec_lo, exec_lo, s0
	s_delay_alu instid0(SALU_CYCLE_1)
	s_mov_b32 s0, exec_lo
	s_waitcnt lgkmcnt(0)
	s_barrier
	buffer_gl0_inv
	v_cmpx_gt_u32_e32 26, v0
	s_cbranch_execz .LBB41_27
; %bb.26:
	ds_load_2addr_b64 v[10:13], v9 offset1:26
	s_waitcnt lgkmcnt(0)
	v_add_f64 v[7:8], v[12:13], v[10:11]
	ds_store_b64 v9, v[7:8]
.LBB41_27:
	s_or_b32 exec_lo, exec_lo, s0
	s_delay_alu instid0(SALU_CYCLE_1)
	s_mov_b32 s0, exec_lo
	s_waitcnt lgkmcnt(0)
	buffer_gl0_inv
	v_cmpx_lt_u32_e32 12, v0
	s_xor_b32 s0, exec_lo, s0
	s_cbranch_execz .LBB41_29
; %bb.28:
	buffer_gl0_inv
                                        ; implicit-def: $vgpr9
.LBB41_29:
	s_and_not1_saveexec_b32 s0, s0
	s_cbranch_execz .LBB41_31
; %bb.30:
	ds_load_2addr_b64 v[5:8], v9 offset1:13
	s_waitcnt lgkmcnt(0)
	v_add_f64 v[5:6], v[7:8], v[5:6]
	ds_store_b64 v9, v[5:6]
	s_waitcnt lgkmcnt(0)
	buffer_gl0_inv
	ds_load_b64 v[5:6], v9
.LBB41_31:
	s_or_b32 exec_lo, exec_lo, s0
	s_waitcnt lgkmcnt(0)
	v_dual_mov_b32 v8, v6 :: v_dual_mov_b32 v7, v5
.LBB41_32:
	v_cmp_gt_u32_e32 vcc_lo, 13, v0
	s_and_b32 exec_lo, exec_lo, vcc_lo
	s_cbranch_execz .LBB41_37
; %bb.33:
	s_waitcnt lgkmcnt(0)
	v_mul_f64 v[3:4], v[3:4], v[7:8]
	s_mov_b32 s0, exec_lo
	v_cmpx_eq_f64_e32 0, v[1:2]
	s_xor_b32 s0, exec_lo, s0
	s_cbranch_execz .LBB41_35
; %bb.34:
	v_mad_u64_u32 v[1:2], null, s8, 13, v[0:1]
	v_mov_b32_e32 v2, 0
	s_delay_alu instid0(VALU_DEP_1) | instskip(NEXT) | instid1(VALU_DEP_1)
	v_lshlrev_b64 v[0:1], 3, v[1:2]
	v_add_co_u32 v0, vcc_lo, s2, v0
	s_delay_alu instid0(VALU_DEP_2)
	v_add_co_ci_u32_e32 v1, vcc_lo, s3, v1, vcc_lo
	global_store_b64 v[0:1], v[3:4], off
                                        ; implicit-def: $vgpr0
                                        ; implicit-def: $vgpr1_vgpr2
                                        ; implicit-def: $vgpr3_vgpr4
.LBB41_35:
	s_and_not1_saveexec_b32 s0, s0
	s_cbranch_execz .LBB41_37
; %bb.36:
	v_mad_u64_u32 v[5:6], null, s8, 13, v[0:1]
	v_mov_b32_e32 v6, 0
	s_delay_alu instid0(VALU_DEP_1) | instskip(NEXT) | instid1(VALU_DEP_1)
	v_lshlrev_b64 v[5:6], 3, v[5:6]
	v_add_co_u32 v5, vcc_lo, s2, v5
	s_delay_alu instid0(VALU_DEP_2)
	v_add_co_ci_u32_e32 v6, vcc_lo, s3, v6, vcc_lo
	global_load_b64 v[7:8], v[5:6], off
	s_waitcnt vmcnt(0)
	v_fma_f64 v[0:1], v[1:2], v[7:8], v[3:4]
	global_store_b64 v[5:6], v[0:1], off
.LBB41_37:
	s_nop 0
	s_sendmsg sendmsg(MSG_DEALLOC_VGPRS)
	s_endpgm
	.section	.rodata,"a",@progbits
	.p2align	6, 0x0
	.amdhsa_kernel _ZN9rocsparseL22gebsrmvn_mxn_16_kernelILj104ELj13ELj8EdEEvi20rocsparse_direction_NS_24const_host_device_scalarIT2_EEPKiS6_PKS3_iiS8_S4_PS3_21rocsparse_index_base_b
		.amdhsa_group_segment_fixed_size 832
		.amdhsa_private_segment_fixed_size 0
		.amdhsa_kernarg_size 80
		.amdhsa_user_sgpr_count 15
		.amdhsa_user_sgpr_dispatch_ptr 0
		.amdhsa_user_sgpr_queue_ptr 0
		.amdhsa_user_sgpr_kernarg_segment_ptr 1
		.amdhsa_user_sgpr_dispatch_id 0
		.amdhsa_user_sgpr_private_segment_size 0
		.amdhsa_wavefront_size32 1
		.amdhsa_uses_dynamic_stack 0
		.amdhsa_enable_private_segment 0
		.amdhsa_system_sgpr_workgroup_id_x 1
		.amdhsa_system_sgpr_workgroup_id_y 0
		.amdhsa_system_sgpr_workgroup_id_z 0
		.amdhsa_system_sgpr_workgroup_info 0
		.amdhsa_system_vgpr_workitem_id 0
		.amdhsa_next_free_vgpr 16
		.amdhsa_next_free_sgpr 16
		.amdhsa_reserve_vcc 1
		.amdhsa_float_round_mode_32 0
		.amdhsa_float_round_mode_16_64 0
		.amdhsa_float_denorm_mode_32 3
		.amdhsa_float_denorm_mode_16_64 3
		.amdhsa_dx10_clamp 1
		.amdhsa_ieee_mode 1
		.amdhsa_fp16_overflow 0
		.amdhsa_workgroup_processor_mode 1
		.amdhsa_memory_ordered 1
		.amdhsa_forward_progress 0
		.amdhsa_shared_vgpr_count 0
		.amdhsa_exception_fp_ieee_invalid_op 0
		.amdhsa_exception_fp_denorm_src 0
		.amdhsa_exception_fp_ieee_div_zero 0
		.amdhsa_exception_fp_ieee_overflow 0
		.amdhsa_exception_fp_ieee_underflow 0
		.amdhsa_exception_fp_ieee_inexact 0
		.amdhsa_exception_int_div_zero 0
	.end_amdhsa_kernel
	.section	.text._ZN9rocsparseL22gebsrmvn_mxn_16_kernelILj104ELj13ELj8EdEEvi20rocsparse_direction_NS_24const_host_device_scalarIT2_EEPKiS6_PKS3_iiS8_S4_PS3_21rocsparse_index_base_b,"axG",@progbits,_ZN9rocsparseL22gebsrmvn_mxn_16_kernelILj104ELj13ELj8EdEEvi20rocsparse_direction_NS_24const_host_device_scalarIT2_EEPKiS6_PKS3_iiS8_S4_PS3_21rocsparse_index_base_b,comdat
.Lfunc_end41:
	.size	_ZN9rocsparseL22gebsrmvn_mxn_16_kernelILj104ELj13ELj8EdEEvi20rocsparse_direction_NS_24const_host_device_scalarIT2_EEPKiS6_PKS3_iiS8_S4_PS3_21rocsparse_index_base_b, .Lfunc_end41-_ZN9rocsparseL22gebsrmvn_mxn_16_kernelILj104ELj13ELj8EdEEvi20rocsparse_direction_NS_24const_host_device_scalarIT2_EEPKiS6_PKS3_iiS8_S4_PS3_21rocsparse_index_base_b
                                        ; -- End function
	.section	.AMDGPU.csdata,"",@progbits
; Kernel info:
; codeLenInByte = 1232
; NumSgprs: 18
; NumVgprs: 16
; ScratchSize: 0
; MemoryBound: 0
; FloatMode: 240
; IeeeMode: 1
; LDSByteSize: 832 bytes/workgroup (compile time only)
; SGPRBlocks: 2
; VGPRBlocks: 1
; NumSGPRsForWavesPerEU: 18
; NumVGPRsForWavesPerEU: 16
; Occupancy: 16
; WaveLimiterHint : 1
; COMPUTE_PGM_RSRC2:SCRATCH_EN: 0
; COMPUTE_PGM_RSRC2:USER_SGPR: 15
; COMPUTE_PGM_RSRC2:TRAP_HANDLER: 0
; COMPUTE_PGM_RSRC2:TGID_X_EN: 1
; COMPUTE_PGM_RSRC2:TGID_Y_EN: 0
; COMPUTE_PGM_RSRC2:TGID_Z_EN: 0
; COMPUTE_PGM_RSRC2:TIDIG_COMP_CNT: 0
	.section	.text._ZN9rocsparseL23gebsrmvn_general_kernelILj256ELj16EdEEvi20rocsparse_direction_NS_24const_host_device_scalarIT1_EEPKiS6_PKS3_iiS8_S4_PS3_21rocsparse_index_base_b,"axG",@progbits,_ZN9rocsparseL23gebsrmvn_general_kernelILj256ELj16EdEEvi20rocsparse_direction_NS_24const_host_device_scalarIT1_EEPKiS6_PKS3_iiS8_S4_PS3_21rocsparse_index_base_b,comdat
	.globl	_ZN9rocsparseL23gebsrmvn_general_kernelILj256ELj16EdEEvi20rocsparse_direction_NS_24const_host_device_scalarIT1_EEPKiS6_PKS3_iiS8_S4_PS3_21rocsparse_index_base_b ; -- Begin function _ZN9rocsparseL23gebsrmvn_general_kernelILj256ELj16EdEEvi20rocsparse_direction_NS_24const_host_device_scalarIT1_EEPKiS6_PKS3_iiS8_S4_PS3_21rocsparse_index_base_b
	.p2align	8
	.type	_ZN9rocsparseL23gebsrmvn_general_kernelILj256ELj16EdEEvi20rocsparse_direction_NS_24const_host_device_scalarIT1_EEPKiS6_PKS3_iiS8_S4_PS3_21rocsparse_index_base_b,@function
_ZN9rocsparseL23gebsrmvn_general_kernelILj256ELj16EdEEvi20rocsparse_direction_NS_24const_host_device_scalarIT1_EEPKiS6_PKS3_iiS8_S4_PS3_21rocsparse_index_base_b: ; @_ZN9rocsparseL23gebsrmvn_general_kernelILj256ELj16EdEEvi20rocsparse_direction_NS_24const_host_device_scalarIT1_EEPKiS6_PKS3_iiS8_S4_PS3_21rocsparse_index_base_b
; %bb.0:
	s_clause 0x2
	s_load_b64 s[8:9], s[0:1], 0x48
	s_load_b64 s[4:5], s[0:1], 0x8
	;; [unrolled: 1-line block ×3, first 2 shown]
	s_mov_b32 s16, s15
	s_waitcnt lgkmcnt(0)
	s_bitcmp1_b32 s9, 0
	v_dual_mov_b32 v1, s4 :: v_dual_mov_b32 v2, s5
	s_cselect_b32 s6, -1, 0
	s_delay_alu instid0(SALU_CYCLE_1)
	s_and_b32 vcc_lo, exec_lo, s6
	s_xor_b32 s6, s6, -1
	s_cbranch_vccnz .LBB42_2
; %bb.1:
	v_dual_mov_b32 v1, s4 :: v_dual_mov_b32 v2, s5
	flat_load_b64 v[1:2], v[1:2]
.LBB42_2:
	v_dual_mov_b32 v4, s3 :: v_dual_mov_b32 v3, s2
	s_and_not1_b32 vcc_lo, exec_lo, s6
	s_cbranch_vccnz .LBB42_4
; %bb.3:
	v_dual_mov_b32 v4, s3 :: v_dual_mov_b32 v3, s2
	flat_load_b64 v[3:4], v[3:4]
.LBB42_4:
	s_waitcnt vmcnt(0) lgkmcnt(0)
	v_cmp_neq_f64_e32 vcc_lo, 0, v[1:2]
	v_cmp_neq_f64_e64 s2, 1.0, v[3:4]
	s_delay_alu instid0(VALU_DEP_1) | instskip(NEXT) | instid1(SALU_CYCLE_1)
	s_or_b32 s2, vcc_lo, s2
	s_and_saveexec_b32 s3, s2
	s_cbranch_execz .LBB42_24
; %bb.5:
	s_load_b64 s[10:11], s[0:1], 0x28
	v_lshrrev_b32_e32 v5, 4, v0
	s_waitcnt lgkmcnt(0)
	s_delay_alu instid0(VALU_DEP_1)
	v_cmp_gt_i32_e32 vcc_lo, s10, v5
	s_and_b32 exec_lo, exec_lo, vcc_lo
	s_cbranch_execz .LBB42_24
; %bb.6:
	s_load_b128 s[4:7], s[0:1], 0x10
	s_ashr_i32 s17, s16, 31
	v_mbcnt_lo_u32_b32 v8, -1, 0
	s_lshl_b64 s[2:3], s[16:17], 2
	s_load_b32 s17, s[0:1], 0x4
	s_mul_i32 s23, s11, s10
	s_delay_alu instid0(VALU_DEP_1) | instskip(SKIP_3) | instid1(VALU_DEP_4)
	v_xor_b32_e32 v6, 8, v8
	v_xor_b32_e32 v7, 4, v8
	v_xor_b32_e32 v9, 2, v8
	v_xor_b32_e32 v10, 1, v8
	v_cmp_gt_i32_e32 vcc_lo, 32, v6
	v_dual_cndmask_b32 v11, v8, v6 :: v_dual_and_b32 v0, 15, v0
	v_cmp_gt_i32_e32 vcc_lo, 32, v7
	s_waitcnt lgkmcnt(0)
	s_add_u32 s2, s4, s2
	s_addc_u32 s3, s5, s3
	v_cndmask_b32_e32 v12, v8, v7, vcc_lo
	s_load_b64 s[20:21], s[2:3], 0x0
	v_cmp_eq_f64_e64 s2, 0, v[3:4]
	s_clause 0x2
	s_load_b64 s[4:5], s[0:1], 0x20
	s_load_b64 s[12:13], s[0:1], 0x30
	;; [unrolled: 1-line block ×3, first 2 shown]
	v_cmp_gt_i32_e32 vcc_lo, 32, v9
	v_cmp_gt_i32_e64 s0, s11, v0
	v_cmp_eq_u32_e64 s1, 15, v0
	s_mov_b32 s3, 0
	s_waitcnt lgkmcnt(0)
	s_sub_i32 s9, s20, s8
	s_sub_i32 s18, s21, s8
	v_mad_u64_u32 v[6:7], null, s10, s9, v[5:6]
	v_cndmask_b32_e32 v7, v8, v9, vcc_lo
	v_cmp_gt_i32_e32 vcc_lo, 32, v10
	s_cmp_lt_i32 s20, s21
	s_mul_i32 s21, s16, s10
	s_cselect_b32 s19, -1, 0
	s_cmp_lg_u32 s17, 0
	v_cndmask_b32_e32 v8, v8, v10, vcc_lo
	v_mul_lo_u32 v13, s11, v6
	v_lshlrev_b32_e32 v10, 2, v11
	v_lshlrev_b32_e32 v11, 2, v12
	;; [unrolled: 1-line block ×4, first 2 shown]
	s_cselect_b32 s20, -1, 0
	s_lshl_b32 s22, s11, 4
	s_branch .LBB42_8
.LBB42_7:                               ;   in Loop: Header=BB42_8 Depth=1
	s_or_b32 exec_lo, exec_lo, s16
	v_add_nc_u32_e32 v5, 16, v5
	v_add_nc_u32_e32 v13, s22, v13
	s_delay_alu instid0(VALU_DEP_2) | instskip(SKIP_1) | instid1(SALU_CYCLE_1)
	v_cmp_le_i32_e32 vcc_lo, s10, v5
	s_or_b32 s3, vcc_lo, s3
	s_and_not1_b32 exec_lo, exec_lo, s3
	s_cbranch_execz .LBB42_24
.LBB42_8:                               ; =>This Loop Header: Depth=1
                                        ;     Child Loop BB42_12 Depth 2
                                        ;       Child Loop BB42_15 Depth 3
	v_mov_b32_e32 v6, 0
	v_mov_b32_e32 v7, 0
	s_and_not1_b32 vcc_lo, exec_lo, s19
	s_cbranch_vccnz .LBB42_19
; %bb.9:                                ;   in Loop: Header=BB42_8 Depth=1
	v_dual_mov_b32 v6, 0 :: v_dual_mov_b32 v15, v13
	v_mov_b32_e32 v7, 0
	s_mov_b32 s16, s9
	s_branch .LBB42_12
.LBB42_10:                              ;   in Loop: Header=BB42_12 Depth=2
	s_set_inst_prefetch_distance 0x2
	s_or_b32 exec_lo, exec_lo, s25
.LBB42_11:                              ;   in Loop: Header=BB42_12 Depth=2
	s_delay_alu instid0(SALU_CYCLE_1) | instskip(SKIP_2) | instid1(SALU_CYCLE_1)
	s_or_b32 exec_lo, exec_lo, s24
	v_add_nc_u32_e32 v15, s23, v15
	s_add_i32 s16, s16, 1
	s_cmp_ge_i32 s16, s18
	s_cbranch_scc1 .LBB42_19
.LBB42_12:                              ;   Parent Loop BB42_8 Depth=1
                                        ; =>  This Loop Header: Depth=2
                                        ;       Child Loop BB42_15 Depth 3
	s_and_saveexec_b32 s24, s0
	s_cbranch_execz .LBB42_11
; %bb.13:                               ;   in Loop: Header=BB42_12 Depth=2
	s_ashr_i32 s17, s16, 31
	v_mov_b32_e32 v16, v0
	s_lshl_b64 s[26:27], s[16:17], 2
	s_mov_b32 s25, 0
	s_add_u32 s26, s6, s26
	s_addc_u32 s27, s7, s27
	s_load_b32 s17, s[26:27], 0x0
	s_waitcnt lgkmcnt(0)
	s_sub_i32 s26, s17, s8
	s_mul_i32 s17, s16, s11
	s_mul_i32 s26, s26, s11
	s_set_inst_prefetch_distance 0x1
	s_branch .LBB42_15
	.p2align	6
.LBB42_14:                              ;   in Loop: Header=BB42_15 Depth=3
	v_add_nc_u32_e32 v17, s26, v16
	s_delay_alu instid0(VALU_DEP_2) | instskip(SKIP_1) | instid1(VALU_DEP_3)
	v_ashrrev_i32_e32 v9, 31, v8
	v_add_nc_u32_e32 v16, 16, v16
	v_ashrrev_i32_e32 v18, 31, v17
	s_delay_alu instid0(VALU_DEP_3) | instskip(NEXT) | instid1(VALU_DEP_2)
	v_lshlrev_b64 v[8:9], 3, v[8:9]
	v_lshlrev_b64 v[17:18], 3, v[17:18]
	s_delay_alu instid0(VALU_DEP_2) | instskip(NEXT) | instid1(VALU_DEP_3)
	v_add_co_u32 v8, vcc_lo, s4, v8
	v_add_co_ci_u32_e32 v9, vcc_lo, s5, v9, vcc_lo
	s_delay_alu instid0(VALU_DEP_3) | instskip(NEXT) | instid1(VALU_DEP_4)
	v_add_co_u32 v17, vcc_lo, s12, v17
	v_add_co_ci_u32_e32 v18, vcc_lo, s13, v18, vcc_lo
	v_cmp_le_i32_e32 vcc_lo, s11, v16
	global_load_b64 v[8:9], v[8:9], off
	global_load_b64 v[17:18], v[17:18], off
	s_or_b32 s25, vcc_lo, s25
	s_waitcnt vmcnt(0)
	v_fma_f64 v[6:7], v[8:9], v[17:18], v[6:7]
	s_and_not1_b32 exec_lo, exec_lo, s25
	s_cbranch_execz .LBB42_10
.LBB42_15:                              ;   Parent Loop BB42_8 Depth=1
                                        ;     Parent Loop BB42_12 Depth=2
                                        ; =>    This Inner Loop Header: Depth=3
	s_and_b32 vcc_lo, exec_lo, s20
	s_cbranch_vccz .LBB42_17
; %bb.16:                               ;   in Loop: Header=BB42_15 Depth=3
	v_add_nc_u32_e32 v17, s17, v16
	s_delay_alu instid0(VALU_DEP_1)
	v_mad_u64_u32 v[8:9], null, v17, s10, v[5:6]
	s_cbranch_execnz .LBB42_14
	s_branch .LBB42_18
	.p2align	6
.LBB42_17:                              ;   in Loop: Header=BB42_15 Depth=3
                                        ; implicit-def: $vgpr8
.LBB42_18:                              ;   in Loop: Header=BB42_15 Depth=3
	v_add_nc_u32_e32 v8, v15, v16
	s_branch .LBB42_14
.LBB42_19:                              ;   in Loop: Header=BB42_8 Depth=1
	s_waitcnt lgkmcnt(1)
	ds_bpermute_b32 v8, v10, v6
	s_waitcnt lgkmcnt(1)
	ds_bpermute_b32 v9, v10, v7
	s_waitcnt lgkmcnt(0)
	v_add_f64 v[6:7], v[6:7], v[8:9]
	ds_bpermute_b32 v8, v11, v6
	ds_bpermute_b32 v9, v11, v7
	s_waitcnt lgkmcnt(0)
	v_add_f64 v[6:7], v[6:7], v[8:9]
	ds_bpermute_b32 v8, v12, v6
	;; [unrolled: 4-line block ×3, first 2 shown]
	ds_bpermute_b32 v9, v14, v7
	s_and_saveexec_b32 s16, s1
	s_cbranch_execz .LBB42_7
; %bb.20:                               ;   in Loop: Header=BB42_8 Depth=1
	s_waitcnt lgkmcnt(0)
	v_add_f64 v[6:7], v[6:7], v[8:9]
	v_add_nc_u32_e32 v8, s21, v5
	s_delay_alu instid0(VALU_DEP_1) | instskip(NEXT) | instid1(VALU_DEP_3)
	v_ashrrev_i32_e32 v9, 31, v8
	v_mul_f64 v[6:7], v[1:2], v[6:7]
	s_and_saveexec_b32 s17, s2
	s_delay_alu instid0(SALU_CYCLE_1)
	s_xor_b32 s17, exec_lo, s17
	s_cbranch_execz .LBB42_22
; %bb.21:                               ;   in Loop: Header=BB42_8 Depth=1
	v_lshlrev_b64 v[8:9], 3, v[8:9]
	s_delay_alu instid0(VALU_DEP_1) | instskip(NEXT) | instid1(VALU_DEP_2)
	v_add_co_u32 v8, vcc_lo, s14, v8
	v_add_co_ci_u32_e32 v9, vcc_lo, s15, v9, vcc_lo
	global_store_b64 v[8:9], v[6:7], off
                                        ; implicit-def: $vgpr8
                                        ; implicit-def: $vgpr6_vgpr7
.LBB42_22:                              ;   in Loop: Header=BB42_8 Depth=1
	s_and_not1_saveexec_b32 s17, s17
	s_cbranch_execz .LBB42_7
; %bb.23:                               ;   in Loop: Header=BB42_8 Depth=1
	v_lshlrev_b64 v[8:9], 3, v[8:9]
	s_delay_alu instid0(VALU_DEP_1) | instskip(NEXT) | instid1(VALU_DEP_2)
	v_add_co_u32 v8, vcc_lo, s14, v8
	v_add_co_ci_u32_e32 v9, vcc_lo, s15, v9, vcc_lo
	global_load_b64 v[15:16], v[8:9], off
	s_waitcnt vmcnt(0)
	v_fma_f64 v[6:7], v[3:4], v[15:16], v[6:7]
	global_store_b64 v[8:9], v[6:7], off
	s_branch .LBB42_7
.LBB42_24:
	s_nop 0
	s_sendmsg sendmsg(MSG_DEALLOC_VGPRS)
	s_endpgm
	.section	.rodata,"a",@progbits
	.p2align	6, 0x0
	.amdhsa_kernel _ZN9rocsparseL23gebsrmvn_general_kernelILj256ELj16EdEEvi20rocsparse_direction_NS_24const_host_device_scalarIT1_EEPKiS6_PKS3_iiS8_S4_PS3_21rocsparse_index_base_b
		.amdhsa_group_segment_fixed_size 0
		.amdhsa_private_segment_fixed_size 0
		.amdhsa_kernarg_size 80
		.amdhsa_user_sgpr_count 15
		.amdhsa_user_sgpr_dispatch_ptr 0
		.amdhsa_user_sgpr_queue_ptr 0
		.amdhsa_user_sgpr_kernarg_segment_ptr 1
		.amdhsa_user_sgpr_dispatch_id 0
		.amdhsa_user_sgpr_private_segment_size 0
		.amdhsa_wavefront_size32 1
		.amdhsa_uses_dynamic_stack 0
		.amdhsa_enable_private_segment 0
		.amdhsa_system_sgpr_workgroup_id_x 1
		.amdhsa_system_sgpr_workgroup_id_y 0
		.amdhsa_system_sgpr_workgroup_id_z 0
		.amdhsa_system_sgpr_workgroup_info 0
		.amdhsa_system_vgpr_workitem_id 0
		.amdhsa_next_free_vgpr 19
		.amdhsa_next_free_sgpr 28
		.amdhsa_reserve_vcc 1
		.amdhsa_float_round_mode_32 0
		.amdhsa_float_round_mode_16_64 0
		.amdhsa_float_denorm_mode_32 3
		.amdhsa_float_denorm_mode_16_64 3
		.amdhsa_dx10_clamp 1
		.amdhsa_ieee_mode 1
		.amdhsa_fp16_overflow 0
		.amdhsa_workgroup_processor_mode 1
		.amdhsa_memory_ordered 1
		.amdhsa_forward_progress 0
		.amdhsa_shared_vgpr_count 0
		.amdhsa_exception_fp_ieee_invalid_op 0
		.amdhsa_exception_fp_denorm_src 0
		.amdhsa_exception_fp_ieee_div_zero 0
		.amdhsa_exception_fp_ieee_overflow 0
		.amdhsa_exception_fp_ieee_underflow 0
		.amdhsa_exception_fp_ieee_inexact 0
		.amdhsa_exception_int_div_zero 0
	.end_amdhsa_kernel
	.section	.text._ZN9rocsparseL23gebsrmvn_general_kernelILj256ELj16EdEEvi20rocsparse_direction_NS_24const_host_device_scalarIT1_EEPKiS6_PKS3_iiS8_S4_PS3_21rocsparse_index_base_b,"axG",@progbits,_ZN9rocsparseL23gebsrmvn_general_kernelILj256ELj16EdEEvi20rocsparse_direction_NS_24const_host_device_scalarIT1_EEPKiS6_PKS3_iiS8_S4_PS3_21rocsparse_index_base_b,comdat
.Lfunc_end42:
	.size	_ZN9rocsparseL23gebsrmvn_general_kernelILj256ELj16EdEEvi20rocsparse_direction_NS_24const_host_device_scalarIT1_EEPKiS6_PKS3_iiS8_S4_PS3_21rocsparse_index_base_b, .Lfunc_end42-_ZN9rocsparseL23gebsrmvn_general_kernelILj256ELj16EdEEvi20rocsparse_direction_NS_24const_host_device_scalarIT1_EEPKiS6_PKS3_iiS8_S4_PS3_21rocsparse_index_base_b
                                        ; -- End function
	.section	.AMDGPU.csdata,"",@progbits
; Kernel info:
; codeLenInByte = 1012
; NumSgprs: 30
; NumVgprs: 19
; ScratchSize: 0
; MemoryBound: 0
; FloatMode: 240
; IeeeMode: 1
; LDSByteSize: 0 bytes/workgroup (compile time only)
; SGPRBlocks: 3
; VGPRBlocks: 2
; NumSGPRsForWavesPerEU: 30
; NumVGPRsForWavesPerEU: 19
; Occupancy: 16
; WaveLimiterHint : 1
; COMPUTE_PGM_RSRC2:SCRATCH_EN: 0
; COMPUTE_PGM_RSRC2:USER_SGPR: 15
; COMPUTE_PGM_RSRC2:TRAP_HANDLER: 0
; COMPUTE_PGM_RSRC2:TGID_X_EN: 1
; COMPUTE_PGM_RSRC2:TGID_Y_EN: 0
; COMPUTE_PGM_RSRC2:TGID_Z_EN: 0
; COMPUTE_PGM_RSRC2:TIDIG_COMP_CNT: 0
	.section	.text._ZN9rocsparseL23gebsrmvn_general_kernelILj512ELj32EdEEvi20rocsparse_direction_NS_24const_host_device_scalarIT1_EEPKiS6_PKS3_iiS8_S4_PS3_21rocsparse_index_base_b,"axG",@progbits,_ZN9rocsparseL23gebsrmvn_general_kernelILj512ELj32EdEEvi20rocsparse_direction_NS_24const_host_device_scalarIT1_EEPKiS6_PKS3_iiS8_S4_PS3_21rocsparse_index_base_b,comdat
	.globl	_ZN9rocsparseL23gebsrmvn_general_kernelILj512ELj32EdEEvi20rocsparse_direction_NS_24const_host_device_scalarIT1_EEPKiS6_PKS3_iiS8_S4_PS3_21rocsparse_index_base_b ; -- Begin function _ZN9rocsparseL23gebsrmvn_general_kernelILj512ELj32EdEEvi20rocsparse_direction_NS_24const_host_device_scalarIT1_EEPKiS6_PKS3_iiS8_S4_PS3_21rocsparse_index_base_b
	.p2align	8
	.type	_ZN9rocsparseL23gebsrmvn_general_kernelILj512ELj32EdEEvi20rocsparse_direction_NS_24const_host_device_scalarIT1_EEPKiS6_PKS3_iiS8_S4_PS3_21rocsparse_index_base_b,@function
_ZN9rocsparseL23gebsrmvn_general_kernelILj512ELj32EdEEvi20rocsparse_direction_NS_24const_host_device_scalarIT1_EEPKiS6_PKS3_iiS8_S4_PS3_21rocsparse_index_base_b: ; @_ZN9rocsparseL23gebsrmvn_general_kernelILj512ELj32EdEEvi20rocsparse_direction_NS_24const_host_device_scalarIT1_EEPKiS6_PKS3_iiS8_S4_PS3_21rocsparse_index_base_b
; %bb.0:
	s_clause 0x2
	s_load_b64 s[8:9], s[0:1], 0x48
	s_load_b64 s[4:5], s[0:1], 0x8
	;; [unrolled: 1-line block ×3, first 2 shown]
	s_mov_b32 s16, s15
	s_waitcnt lgkmcnt(0)
	s_bitcmp1_b32 s9, 0
	v_dual_mov_b32 v1, s4 :: v_dual_mov_b32 v2, s5
	s_cselect_b32 s6, -1, 0
	s_delay_alu instid0(SALU_CYCLE_1)
	s_and_b32 vcc_lo, exec_lo, s6
	s_xor_b32 s6, s6, -1
	s_cbranch_vccnz .LBB43_2
; %bb.1:
	v_dual_mov_b32 v1, s4 :: v_dual_mov_b32 v2, s5
	flat_load_b64 v[1:2], v[1:2]
.LBB43_2:
	v_dual_mov_b32 v4, s3 :: v_dual_mov_b32 v3, s2
	s_and_not1_b32 vcc_lo, exec_lo, s6
	s_cbranch_vccnz .LBB43_4
; %bb.3:
	v_dual_mov_b32 v4, s3 :: v_dual_mov_b32 v3, s2
	flat_load_b64 v[3:4], v[3:4]
.LBB43_4:
	s_waitcnt vmcnt(0) lgkmcnt(0)
	v_cmp_neq_f64_e32 vcc_lo, 0, v[1:2]
	v_cmp_neq_f64_e64 s2, 1.0, v[3:4]
	s_delay_alu instid0(VALU_DEP_1) | instskip(NEXT) | instid1(SALU_CYCLE_1)
	s_or_b32 s2, vcc_lo, s2
	s_and_saveexec_b32 s3, s2
	s_cbranch_execz .LBB43_24
; %bb.5:
	s_load_b64 s[10:11], s[0:1], 0x28
	v_lshrrev_b32_e32 v5, 5, v0
	s_waitcnt lgkmcnt(0)
	s_delay_alu instid0(VALU_DEP_1)
	v_cmp_gt_i32_e32 vcc_lo, s10, v5
	s_and_b32 exec_lo, exec_lo, vcc_lo
	s_cbranch_execz .LBB43_24
; %bb.6:
	s_load_b128 s[4:7], s[0:1], 0x10
	v_mbcnt_lo_u32_b32 v8, -1, 0
	s_ashr_i32 s17, s16, 31
	s_mul_i32 s23, s11, s10
	s_lshl_b64 s[2:3], s[16:17], 2
	s_load_b32 s17, s[0:1], 0x4
	v_xor_b32_e32 v6, 16, v8
	v_xor_b32_e32 v7, 8, v8
	;; [unrolled: 1-line block ×5, first 2 shown]
	v_cmp_gt_i32_e32 vcc_lo, 32, v6
	v_cndmask_b32_e32 v12, v8, v6, vcc_lo
	v_cmp_gt_i32_e32 vcc_lo, 32, v7
	v_and_b32_e32 v0, 31, v0
	s_waitcnt lgkmcnt(0)
	s_add_u32 s2, s4, s2
	s_addc_u32 s3, s5, s3
	v_cndmask_b32_e32 v13, v8, v7, vcc_lo
	s_load_b64 s[20:21], s[2:3], 0x0
	s_clause 0x2
	s_load_b64 s[4:5], s[0:1], 0x20
	s_load_b64 s[12:13], s[0:1], 0x30
	;; [unrolled: 1-line block ×3, first 2 shown]
	v_cmp_eq_f64_e64 s0, 0, v[3:4]
	v_cmp_gt_i32_e32 vcc_lo, 32, v9
	v_cmp_gt_i32_e64 s1, s11, v0
	v_cmp_eq_u32_e64 s2, 31, v0
	s_mov_b32 s3, 0
	v_cndmask_b32_e32 v9, v8, v9, vcc_lo
	v_cmp_gt_i32_e32 vcc_lo, 32, v10
	v_cndmask_b32_e32 v14, v8, v10, vcc_lo
	v_cmp_gt_i32_e32 vcc_lo, 32, v11
	s_waitcnt lgkmcnt(0)
	s_sub_i32 s9, s20, s8
	s_sub_i32 s18, s21, s8
	v_mad_u64_u32 v[6:7], null, s10, s9, v[5:6]
	v_cndmask_b32_e32 v7, v8, v11, vcc_lo
	v_lshlrev_b32_e32 v11, 2, v13
	v_lshlrev_b32_e32 v10, 2, v12
	;; [unrolled: 1-line block ×3, first 2 shown]
	s_cmp_lt_i32 s20, s21
	v_lshlrev_b32_e32 v15, 2, v7
	v_lshlrev_b32_e32 v13, 2, v14
	v_mul_lo_u32 v14, s11, v6
	s_cselect_b32 s19, -1, 0
	s_cmp_lg_u32 s17, 0
	s_mul_i32 s21, s16, s10
	s_cselect_b32 s20, -1, 0
	s_lshl_b32 s22, s11, 4
	s_branch .LBB43_8
.LBB43_7:                               ;   in Loop: Header=BB43_8 Depth=1
	s_or_b32 exec_lo, exec_lo, s16
	v_add_nc_u32_e32 v5, 16, v5
	v_add_nc_u32_e32 v14, s22, v14
	s_delay_alu instid0(VALU_DEP_2) | instskip(SKIP_1) | instid1(SALU_CYCLE_1)
	v_cmp_le_i32_e32 vcc_lo, s10, v5
	s_or_b32 s3, vcc_lo, s3
	s_and_not1_b32 exec_lo, exec_lo, s3
	s_cbranch_execz .LBB43_24
.LBB43_8:                               ; =>This Loop Header: Depth=1
                                        ;     Child Loop BB43_12 Depth 2
                                        ;       Child Loop BB43_15 Depth 3
	v_mov_b32_e32 v6, 0
	v_mov_b32_e32 v7, 0
	s_and_not1_b32 vcc_lo, exec_lo, s19
	s_cbranch_vccnz .LBB43_19
; %bb.9:                                ;   in Loop: Header=BB43_8 Depth=1
	v_mov_b32_e32 v6, 0
	v_dual_mov_b32 v7, 0 :: v_dual_mov_b32 v16, v14
	s_mov_b32 s16, s9
	s_branch .LBB43_12
.LBB43_10:                              ;   in Loop: Header=BB43_12 Depth=2
	s_set_inst_prefetch_distance 0x2
	s_or_b32 exec_lo, exec_lo, s25
.LBB43_11:                              ;   in Loop: Header=BB43_12 Depth=2
	s_delay_alu instid0(SALU_CYCLE_1) | instskip(SKIP_2) | instid1(SALU_CYCLE_1)
	s_or_b32 exec_lo, exec_lo, s24
	v_add_nc_u32_e32 v16, s23, v16
	s_add_i32 s16, s16, 1
	s_cmp_ge_i32 s16, s18
	s_cbranch_scc1 .LBB43_19
.LBB43_12:                              ;   Parent Loop BB43_8 Depth=1
                                        ; =>  This Loop Header: Depth=2
                                        ;       Child Loop BB43_15 Depth 3
	s_and_saveexec_b32 s24, s1
	s_cbranch_execz .LBB43_11
; %bb.13:                               ;   in Loop: Header=BB43_12 Depth=2
	s_ashr_i32 s17, s16, 31
	v_mov_b32_e32 v17, v0
	s_lshl_b64 s[26:27], s[16:17], 2
	s_mov_b32 s25, 0
	s_add_u32 s26, s6, s26
	s_addc_u32 s27, s7, s27
	s_load_b32 s17, s[26:27], 0x0
	s_waitcnt lgkmcnt(0)
	s_sub_i32 s26, s17, s8
	s_mul_i32 s17, s16, s11
	s_mul_i32 s26, s26, s11
	s_set_inst_prefetch_distance 0x1
	s_branch .LBB43_15
	.p2align	6
.LBB43_14:                              ;   in Loop: Header=BB43_15 Depth=3
	v_add_nc_u32_e32 v18, s26, v17
	s_delay_alu instid0(VALU_DEP_2) | instskip(SKIP_1) | instid1(VALU_DEP_3)
	v_ashrrev_i32_e32 v9, 31, v8
	v_add_nc_u32_e32 v17, 32, v17
	v_ashrrev_i32_e32 v19, 31, v18
	s_delay_alu instid0(VALU_DEP_3) | instskip(NEXT) | instid1(VALU_DEP_2)
	v_lshlrev_b64 v[8:9], 3, v[8:9]
	v_lshlrev_b64 v[18:19], 3, v[18:19]
	s_delay_alu instid0(VALU_DEP_2) | instskip(NEXT) | instid1(VALU_DEP_3)
	v_add_co_u32 v8, vcc_lo, s4, v8
	v_add_co_ci_u32_e32 v9, vcc_lo, s5, v9, vcc_lo
	s_delay_alu instid0(VALU_DEP_3) | instskip(NEXT) | instid1(VALU_DEP_4)
	v_add_co_u32 v18, vcc_lo, s12, v18
	v_add_co_ci_u32_e32 v19, vcc_lo, s13, v19, vcc_lo
	v_cmp_le_i32_e32 vcc_lo, s11, v17
	global_load_b64 v[8:9], v[8:9], off
	global_load_b64 v[18:19], v[18:19], off
	s_or_b32 s25, vcc_lo, s25
	s_waitcnt vmcnt(0)
	v_fma_f64 v[6:7], v[8:9], v[18:19], v[6:7]
	s_and_not1_b32 exec_lo, exec_lo, s25
	s_cbranch_execz .LBB43_10
.LBB43_15:                              ;   Parent Loop BB43_8 Depth=1
                                        ;     Parent Loop BB43_12 Depth=2
                                        ; =>    This Inner Loop Header: Depth=3
	s_and_b32 vcc_lo, exec_lo, s20
	s_cbranch_vccz .LBB43_17
; %bb.16:                               ;   in Loop: Header=BB43_15 Depth=3
	v_add_nc_u32_e32 v18, s17, v17
	s_delay_alu instid0(VALU_DEP_1)
	v_mad_u64_u32 v[8:9], null, v18, s10, v[5:6]
	s_cbranch_execnz .LBB43_14
	s_branch .LBB43_18
	.p2align	6
.LBB43_17:                              ;   in Loop: Header=BB43_15 Depth=3
                                        ; implicit-def: $vgpr8
.LBB43_18:                              ;   in Loop: Header=BB43_15 Depth=3
	v_add_nc_u32_e32 v8, v16, v17
	s_branch .LBB43_14
.LBB43_19:                              ;   in Loop: Header=BB43_8 Depth=1
	s_waitcnt lgkmcnt(1)
	ds_bpermute_b32 v8, v10, v6
	s_waitcnt lgkmcnt(1)
	ds_bpermute_b32 v9, v10, v7
	s_waitcnt lgkmcnt(0)
	v_add_f64 v[6:7], v[6:7], v[8:9]
	ds_bpermute_b32 v8, v11, v6
	ds_bpermute_b32 v9, v11, v7
	s_waitcnt lgkmcnt(0)
	v_add_f64 v[6:7], v[6:7], v[8:9]
	ds_bpermute_b32 v8, v12, v6
	;; [unrolled: 4-line block ×4, first 2 shown]
	ds_bpermute_b32 v9, v15, v7
	s_and_saveexec_b32 s16, s2
	s_cbranch_execz .LBB43_7
; %bb.20:                               ;   in Loop: Header=BB43_8 Depth=1
	s_waitcnt lgkmcnt(0)
	v_add_f64 v[6:7], v[6:7], v[8:9]
	v_add_nc_u32_e32 v8, s21, v5
	s_delay_alu instid0(VALU_DEP_1) | instskip(NEXT) | instid1(VALU_DEP_3)
	v_ashrrev_i32_e32 v9, 31, v8
	v_mul_f64 v[6:7], v[1:2], v[6:7]
	s_and_saveexec_b32 s17, s0
	s_delay_alu instid0(SALU_CYCLE_1)
	s_xor_b32 s17, exec_lo, s17
	s_cbranch_execz .LBB43_22
; %bb.21:                               ;   in Loop: Header=BB43_8 Depth=1
	v_lshlrev_b64 v[8:9], 3, v[8:9]
	s_delay_alu instid0(VALU_DEP_1) | instskip(NEXT) | instid1(VALU_DEP_2)
	v_add_co_u32 v8, vcc_lo, s14, v8
	v_add_co_ci_u32_e32 v9, vcc_lo, s15, v9, vcc_lo
	global_store_b64 v[8:9], v[6:7], off
                                        ; implicit-def: $vgpr8
                                        ; implicit-def: $vgpr6_vgpr7
.LBB43_22:                              ;   in Loop: Header=BB43_8 Depth=1
	s_and_not1_saveexec_b32 s17, s17
	s_cbranch_execz .LBB43_7
; %bb.23:                               ;   in Loop: Header=BB43_8 Depth=1
	v_lshlrev_b64 v[8:9], 3, v[8:9]
	s_delay_alu instid0(VALU_DEP_1) | instskip(NEXT) | instid1(VALU_DEP_2)
	v_add_co_u32 v8, vcc_lo, s14, v8
	v_add_co_ci_u32_e32 v9, vcc_lo, s15, v9, vcc_lo
	global_load_b64 v[16:17], v[8:9], off
	s_waitcnt vmcnt(0)
	v_fma_f64 v[6:7], v[3:4], v[16:17], v[6:7]
	global_store_b64 v[8:9], v[6:7], off
	s_branch .LBB43_7
.LBB43_24:
	s_nop 0
	s_sendmsg sendmsg(MSG_DEALLOC_VGPRS)
	s_endpgm
	.section	.rodata,"a",@progbits
	.p2align	6, 0x0
	.amdhsa_kernel _ZN9rocsparseL23gebsrmvn_general_kernelILj512ELj32EdEEvi20rocsparse_direction_NS_24const_host_device_scalarIT1_EEPKiS6_PKS3_iiS8_S4_PS3_21rocsparse_index_base_b
		.amdhsa_group_segment_fixed_size 0
		.amdhsa_private_segment_fixed_size 0
		.amdhsa_kernarg_size 80
		.amdhsa_user_sgpr_count 15
		.amdhsa_user_sgpr_dispatch_ptr 0
		.amdhsa_user_sgpr_queue_ptr 0
		.amdhsa_user_sgpr_kernarg_segment_ptr 1
		.amdhsa_user_sgpr_dispatch_id 0
		.amdhsa_user_sgpr_private_segment_size 0
		.amdhsa_wavefront_size32 1
		.amdhsa_uses_dynamic_stack 0
		.amdhsa_enable_private_segment 0
		.amdhsa_system_sgpr_workgroup_id_x 1
		.amdhsa_system_sgpr_workgroup_id_y 0
		.amdhsa_system_sgpr_workgroup_id_z 0
		.amdhsa_system_sgpr_workgroup_info 0
		.amdhsa_system_vgpr_workitem_id 0
		.amdhsa_next_free_vgpr 20
		.amdhsa_next_free_sgpr 28
		.amdhsa_reserve_vcc 1
		.amdhsa_float_round_mode_32 0
		.amdhsa_float_round_mode_16_64 0
		.amdhsa_float_denorm_mode_32 3
		.amdhsa_float_denorm_mode_16_64 3
		.amdhsa_dx10_clamp 1
		.amdhsa_ieee_mode 1
		.amdhsa_fp16_overflow 0
		.amdhsa_workgroup_processor_mode 1
		.amdhsa_memory_ordered 1
		.amdhsa_forward_progress 0
		.amdhsa_shared_vgpr_count 0
		.amdhsa_exception_fp_ieee_invalid_op 0
		.amdhsa_exception_fp_denorm_src 0
		.amdhsa_exception_fp_ieee_div_zero 0
		.amdhsa_exception_fp_ieee_overflow 0
		.amdhsa_exception_fp_ieee_underflow 0
		.amdhsa_exception_fp_ieee_inexact 0
		.amdhsa_exception_int_div_zero 0
	.end_amdhsa_kernel
	.section	.text._ZN9rocsparseL23gebsrmvn_general_kernelILj512ELj32EdEEvi20rocsparse_direction_NS_24const_host_device_scalarIT1_EEPKiS6_PKS3_iiS8_S4_PS3_21rocsparse_index_base_b,"axG",@progbits,_ZN9rocsparseL23gebsrmvn_general_kernelILj512ELj32EdEEvi20rocsparse_direction_NS_24const_host_device_scalarIT1_EEPKiS6_PKS3_iiS8_S4_PS3_21rocsparse_index_base_b,comdat
.Lfunc_end43:
	.size	_ZN9rocsparseL23gebsrmvn_general_kernelILj512ELj32EdEEvi20rocsparse_direction_NS_24const_host_device_scalarIT1_EEPKiS6_PKS3_iiS8_S4_PS3_21rocsparse_index_base_b, .Lfunc_end43-_ZN9rocsparseL23gebsrmvn_general_kernelILj512ELj32EdEEvi20rocsparse_direction_NS_24const_host_device_scalarIT1_EEPKiS6_PKS3_iiS8_S4_PS3_21rocsparse_index_base_b
                                        ; -- End function
	.section	.AMDGPU.csdata,"",@progbits
; Kernel info:
; codeLenInByte = 1052
; NumSgprs: 30
; NumVgprs: 20
; ScratchSize: 0
; MemoryBound: 0
; FloatMode: 240
; IeeeMode: 1
; LDSByteSize: 0 bytes/workgroup (compile time only)
; SGPRBlocks: 3
; VGPRBlocks: 2
; NumSGPRsForWavesPerEU: 30
; NumVGPRsForWavesPerEU: 20
; Occupancy: 16
; WaveLimiterHint : 1
; COMPUTE_PGM_RSRC2:SCRATCH_EN: 0
; COMPUTE_PGM_RSRC2:USER_SGPR: 15
; COMPUTE_PGM_RSRC2:TRAP_HANDLER: 0
; COMPUTE_PGM_RSRC2:TGID_X_EN: 1
; COMPUTE_PGM_RSRC2:TGID_Y_EN: 0
; COMPUTE_PGM_RSRC2:TGID_Z_EN: 0
; COMPUTE_PGM_RSRC2:TIDIG_COMP_CNT: 0
	.section	.text._ZN9rocsparseL22gebsrmvn_mxn_16_kernelILj56ELj14ELj1EdEEvi20rocsparse_direction_NS_24const_host_device_scalarIT2_EEPKiS6_PKS3_iiS8_S4_PS3_21rocsparse_index_base_b,"axG",@progbits,_ZN9rocsparseL22gebsrmvn_mxn_16_kernelILj56ELj14ELj1EdEEvi20rocsparse_direction_NS_24const_host_device_scalarIT2_EEPKiS6_PKS3_iiS8_S4_PS3_21rocsparse_index_base_b,comdat
	.globl	_ZN9rocsparseL22gebsrmvn_mxn_16_kernelILj56ELj14ELj1EdEEvi20rocsparse_direction_NS_24const_host_device_scalarIT2_EEPKiS6_PKS3_iiS8_S4_PS3_21rocsparse_index_base_b ; -- Begin function _ZN9rocsparseL22gebsrmvn_mxn_16_kernelILj56ELj14ELj1EdEEvi20rocsparse_direction_NS_24const_host_device_scalarIT2_EEPKiS6_PKS3_iiS8_S4_PS3_21rocsparse_index_base_b
	.p2align	8
	.type	_ZN9rocsparseL22gebsrmvn_mxn_16_kernelILj56ELj14ELj1EdEEvi20rocsparse_direction_NS_24const_host_device_scalarIT2_EEPKiS6_PKS3_iiS8_S4_PS3_21rocsparse_index_base_b,@function
_ZN9rocsparseL22gebsrmvn_mxn_16_kernelILj56ELj14ELj1EdEEvi20rocsparse_direction_NS_24const_host_device_scalarIT2_EEPKiS6_PKS3_iiS8_S4_PS3_21rocsparse_index_base_b: ; @_ZN9rocsparseL22gebsrmvn_mxn_16_kernelILj56ELj14ELj1EdEEvi20rocsparse_direction_NS_24const_host_device_scalarIT2_EEPKiS6_PKS3_iiS8_S4_PS3_21rocsparse_index_base_b
; %bb.0:
	s_clause 0x2
	s_load_b64 s[10:11], s[0:1], 0x48
	s_load_b64 s[4:5], s[0:1], 0x8
	;; [unrolled: 1-line block ×3, first 2 shown]
	s_mov_b32 s8, s15
	s_waitcnt lgkmcnt(0)
	s_bitcmp1_b32 s11, 0
	v_dual_mov_b32 v3, s4 :: v_dual_mov_b32 v4, s5
	s_cselect_b32 s6, -1, 0
	s_delay_alu instid0(SALU_CYCLE_1)
	s_and_b32 vcc_lo, exec_lo, s6
	s_xor_b32 s6, s6, -1
	s_cbranch_vccnz .LBB44_2
; %bb.1:
	v_dual_mov_b32 v1, s4 :: v_dual_mov_b32 v2, s5
	flat_load_b64 v[3:4], v[1:2]
.LBB44_2:
	v_dual_mov_b32 v1, s2 :: v_dual_mov_b32 v2, s3
	s_and_not1_b32 vcc_lo, exec_lo, s6
	s_cbranch_vccnz .LBB44_4
; %bb.3:
	v_dual_mov_b32 v1, s2 :: v_dual_mov_b32 v2, s3
	flat_load_b64 v[1:2], v[1:2]
.LBB44_4:
	s_waitcnt vmcnt(0) lgkmcnt(0)
	v_cmp_neq_f64_e32 vcc_lo, 0, v[3:4]
	v_cmp_neq_f64_e64 s2, 1.0, v[1:2]
	s_delay_alu instid0(VALU_DEP_1) | instskip(NEXT) | instid1(SALU_CYCLE_1)
	s_or_b32 s2, vcc_lo, s2
	s_and_saveexec_b32 s3, s2
	s_cbranch_execz .LBB44_24
; %bb.5:
	s_load_b64 s[2:3], s[0:1], 0x10
	s_ashr_i32 s9, s8, 31
	s_delay_alu instid0(SALU_CYCLE_1)
	s_lshl_b64 s[4:5], s[8:9], 2
	s_waitcnt lgkmcnt(0)
	s_add_u32 s2, s2, s4
	s_addc_u32 s3, s3, s5
	s_load_b64 s[12:13], s[2:3], 0x0
	s_waitcnt lgkmcnt(0)
	s_cmp_lt_i32 s12, s13
	s_cbranch_scc1 .LBB44_7
; %bb.6:
	s_mov_b32 s6, 0
	s_mov_b64 s[4:5], 0
	s_branch .LBB44_8
.LBB44_7:
	s_mov_b32 s6, -1
                                        ; implicit-def: $sgpr4_sgpr5
.LBB44_8:
	s_load_b64 s[2:3], s[0:1], 0x40
	v_dual_mov_b32 v6, s5 :: v_dual_mov_b32 v5, s4
	s_and_not1_b32 vcc_lo, exec_lo, s6
	s_cbranch_vccnz .LBB44_13
; %bb.9:
	s_clause 0x1
	s_load_b128 s[4:7], s[0:1], 0x18
	s_load_b64 s[0:1], s[0:1], 0x30
	v_mad_u64_u32 v[5:6], null, s12, 14, v[0:1]
	v_mul_u32_u24_e32 v6, 0x124a, v0
	s_mul_i32 s9, s10, 14
	s_sub_i32 s11, s12, s10
	v_mov_b32_e32 v8, 0
	s_delay_alu instid0(VALU_DEP_2) | instskip(NEXT) | instid1(VALU_DEP_4)
	v_lshrrev_b32_e32 v11, 16, v6
	v_subrev_nc_u32_e32 v7, s9, v5
	v_mov_b32_e32 v5, 0
	v_mov_b32_e32 v6, 0
	s_sub_i32 s9, s13, s10
	s_set_inst_prefetch_distance 0x1
	s_branch .LBB44_11
	.p2align	6
.LBB44_10:                              ;   in Loop: Header=BB44_11 Depth=1
	s_or_b32 exec_lo, exec_lo, s12
	v_add_nc_u32_e32 v7, 56, v7
	s_add_i32 s11, s11, 4
	s_delay_alu instid0(SALU_CYCLE_1)
	s_cmp_ge_i32 s11, s9
	s_cbranch_scc1 .LBB44_13
.LBB44_11:                              ; =>This Inner Loop Header: Depth=1
	v_add_nc_u32_e32 v9, s11, v11
	s_mov_b32 s12, exec_lo
	s_delay_alu instid0(VALU_DEP_1)
	v_cmpx_gt_i32_e64 s9, v9
	s_cbranch_execz .LBB44_10
; %bb.12:                               ;   in Loop: Header=BB44_11 Depth=1
	v_ashrrev_i32_e32 v10, 31, v9
	v_lshlrev_b64 v[12:13], 3, v[7:8]
	s_delay_alu instid0(VALU_DEP_2) | instskip(SKIP_1) | instid1(VALU_DEP_1)
	v_lshlrev_b64 v[9:10], 2, v[9:10]
	s_waitcnt lgkmcnt(0)
	v_add_co_u32 v9, vcc_lo, s4, v9
	s_delay_alu instid0(VALU_DEP_2) | instskip(NEXT) | instid1(VALU_DEP_4)
	v_add_co_ci_u32_e32 v10, vcc_lo, s5, v10, vcc_lo
	v_add_co_u32 v12, vcc_lo, s6, v12
	v_add_co_ci_u32_e32 v13, vcc_lo, s7, v13, vcc_lo
	global_load_b32 v9, v[9:10], off
	s_waitcnt vmcnt(0)
	v_subrev_nc_u32_e32 v9, s10, v9
	s_delay_alu instid0(VALU_DEP_1) | instskip(NEXT) | instid1(VALU_DEP_1)
	v_ashrrev_i32_e32 v10, 31, v9
	v_lshlrev_b64 v[9:10], 3, v[9:10]
	s_delay_alu instid0(VALU_DEP_1) | instskip(NEXT) | instid1(VALU_DEP_2)
	v_add_co_u32 v9, vcc_lo, s0, v9
	v_add_co_ci_u32_e32 v10, vcc_lo, s1, v10, vcc_lo
	global_load_b64 v[12:13], v[12:13], off
	global_load_b64 v[9:10], v[9:10], off
	s_waitcnt vmcnt(0)
	v_fma_f64 v[5:6], v[12:13], v[9:10], v[5:6]
	s_branch .LBB44_10
.LBB44_13:
	s_set_inst_prefetch_distance 0x2
	v_lshlrev_b32_e32 v7, 3, v0
	s_waitcnt lgkmcnt(0)
	s_mov_b32 s0, exec_lo
	ds_store_b64 v7, v[5:6]
	s_waitcnt lgkmcnt(0)
	s_barrier
	buffer_gl0_inv
	v_cmpx_gt_u32_e32 28, v0
	s_cbranch_execz .LBB44_15
; %bb.14:
	ds_load_2addr_b64 v[8:11], v7 offset1:28
	s_waitcnt lgkmcnt(0)
	v_add_f64 v[8:9], v[10:11], v[8:9]
	ds_store_b64 v7, v[8:9]
.LBB44_15:
	s_or_b32 exec_lo, exec_lo, s0
	v_cmp_gt_u32_e32 vcc_lo, 14, v0
	s_waitcnt lgkmcnt(0)
	s_barrier
	buffer_gl0_inv
	s_and_saveexec_b32 s0, vcc_lo
	s_cbranch_execz .LBB44_17
; %bb.16:
	ds_load_2addr_b64 v[8:11], v7 offset1:14
	s_waitcnt lgkmcnt(0)
	v_add_f64 v[8:9], v[10:11], v[8:9]
	ds_store_b64 v7, v[8:9]
.LBB44_17:
	s_or_b32 exec_lo, exec_lo, s0
	s_waitcnt lgkmcnt(0)
	s_barrier
	buffer_gl0_inv
	s_and_saveexec_b32 s0, vcc_lo
	s_cbranch_execz .LBB44_19
; %bb.18:
	ds_load_b64 v[5:6], v7
.LBB44_19:
	s_or_b32 exec_lo, exec_lo, s0
	s_delay_alu instid0(SALU_CYCLE_1)
	s_and_b32 exec_lo, exec_lo, vcc_lo
	s_cbranch_execz .LBB44_24
; %bb.20:
	s_waitcnt lgkmcnt(0)
	v_mul_f64 v[3:4], v[3:4], v[5:6]
	s_mov_b32 s0, exec_lo
	v_cmpx_eq_f64_e32 0, v[1:2]
	s_xor_b32 s0, exec_lo, s0
	s_cbranch_execz .LBB44_22
; %bb.21:
	v_mad_u64_u32 v[1:2], null, s8, 14, v[0:1]
	v_mov_b32_e32 v2, 0
	s_delay_alu instid0(VALU_DEP_1) | instskip(NEXT) | instid1(VALU_DEP_1)
	v_lshlrev_b64 v[0:1], 3, v[1:2]
	v_add_co_u32 v0, vcc_lo, s2, v0
	s_delay_alu instid0(VALU_DEP_2)
	v_add_co_ci_u32_e32 v1, vcc_lo, s3, v1, vcc_lo
	global_store_b64 v[0:1], v[3:4], off
                                        ; implicit-def: $vgpr0
                                        ; implicit-def: $vgpr1_vgpr2
                                        ; implicit-def: $vgpr3_vgpr4
.LBB44_22:
	s_and_not1_saveexec_b32 s0, s0
	s_cbranch_execz .LBB44_24
; %bb.23:
	v_mad_u64_u32 v[5:6], null, s8, 14, v[0:1]
	v_mov_b32_e32 v6, 0
	s_delay_alu instid0(VALU_DEP_1) | instskip(NEXT) | instid1(VALU_DEP_1)
	v_lshlrev_b64 v[5:6], 3, v[5:6]
	v_add_co_u32 v5, vcc_lo, s2, v5
	s_delay_alu instid0(VALU_DEP_2)
	v_add_co_ci_u32_e32 v6, vcc_lo, s3, v6, vcc_lo
	global_load_b64 v[7:8], v[5:6], off
	s_waitcnt vmcnt(0)
	v_fma_f64 v[0:1], v[1:2], v[7:8], v[3:4]
	global_store_b64 v[5:6], v[0:1], off
.LBB44_24:
	s_nop 0
	s_sendmsg sendmsg(MSG_DEALLOC_VGPRS)
	s_endpgm
	.section	.rodata,"a",@progbits
	.p2align	6, 0x0
	.amdhsa_kernel _ZN9rocsparseL22gebsrmvn_mxn_16_kernelILj56ELj14ELj1EdEEvi20rocsparse_direction_NS_24const_host_device_scalarIT2_EEPKiS6_PKS3_iiS8_S4_PS3_21rocsparse_index_base_b
		.amdhsa_group_segment_fixed_size 448
		.amdhsa_private_segment_fixed_size 0
		.amdhsa_kernarg_size 80
		.amdhsa_user_sgpr_count 15
		.amdhsa_user_sgpr_dispatch_ptr 0
		.amdhsa_user_sgpr_queue_ptr 0
		.amdhsa_user_sgpr_kernarg_segment_ptr 1
		.amdhsa_user_sgpr_dispatch_id 0
		.amdhsa_user_sgpr_private_segment_size 0
		.amdhsa_wavefront_size32 1
		.amdhsa_uses_dynamic_stack 0
		.amdhsa_enable_private_segment 0
		.amdhsa_system_sgpr_workgroup_id_x 1
		.amdhsa_system_sgpr_workgroup_id_y 0
		.amdhsa_system_sgpr_workgroup_id_z 0
		.amdhsa_system_sgpr_workgroup_info 0
		.amdhsa_system_vgpr_workitem_id 0
		.amdhsa_next_free_vgpr 14
		.amdhsa_next_free_sgpr 16
		.amdhsa_reserve_vcc 1
		.amdhsa_float_round_mode_32 0
		.amdhsa_float_round_mode_16_64 0
		.amdhsa_float_denorm_mode_32 3
		.amdhsa_float_denorm_mode_16_64 3
		.amdhsa_dx10_clamp 1
		.amdhsa_ieee_mode 1
		.amdhsa_fp16_overflow 0
		.amdhsa_workgroup_processor_mode 1
		.amdhsa_memory_ordered 1
		.amdhsa_forward_progress 0
		.amdhsa_shared_vgpr_count 0
		.amdhsa_exception_fp_ieee_invalid_op 0
		.amdhsa_exception_fp_denorm_src 0
		.amdhsa_exception_fp_ieee_div_zero 0
		.amdhsa_exception_fp_ieee_overflow 0
		.amdhsa_exception_fp_ieee_underflow 0
		.amdhsa_exception_fp_ieee_inexact 0
		.amdhsa_exception_int_div_zero 0
	.end_amdhsa_kernel
	.section	.text._ZN9rocsparseL22gebsrmvn_mxn_16_kernelILj56ELj14ELj1EdEEvi20rocsparse_direction_NS_24const_host_device_scalarIT2_EEPKiS6_PKS3_iiS8_S4_PS3_21rocsparse_index_base_b,"axG",@progbits,_ZN9rocsparseL22gebsrmvn_mxn_16_kernelILj56ELj14ELj1EdEEvi20rocsparse_direction_NS_24const_host_device_scalarIT2_EEPKiS6_PKS3_iiS8_S4_PS3_21rocsparse_index_base_b,comdat
.Lfunc_end44:
	.size	_ZN9rocsparseL22gebsrmvn_mxn_16_kernelILj56ELj14ELj1EdEEvi20rocsparse_direction_NS_24const_host_device_scalarIT2_EEPKiS6_PKS3_iiS8_S4_PS3_21rocsparse_index_base_b, .Lfunc_end44-_ZN9rocsparseL22gebsrmvn_mxn_16_kernelILj56ELj14ELj1EdEEvi20rocsparse_direction_NS_24const_host_device_scalarIT2_EEPKiS6_PKS3_iiS8_S4_PS3_21rocsparse_index_base_b
                                        ; -- End function
	.section	.AMDGPU.csdata,"",@progbits
; Kernel info:
; codeLenInByte = 856
; NumSgprs: 18
; NumVgprs: 14
; ScratchSize: 0
; MemoryBound: 0
; FloatMode: 240
; IeeeMode: 1
; LDSByteSize: 448 bytes/workgroup (compile time only)
; SGPRBlocks: 2
; VGPRBlocks: 1
; NumSGPRsForWavesPerEU: 18
; NumVGPRsForWavesPerEU: 14
; Occupancy: 16
; WaveLimiterHint : 1
; COMPUTE_PGM_RSRC2:SCRATCH_EN: 0
; COMPUTE_PGM_RSRC2:USER_SGPR: 15
; COMPUTE_PGM_RSRC2:TRAP_HANDLER: 0
; COMPUTE_PGM_RSRC2:TGID_X_EN: 1
; COMPUTE_PGM_RSRC2:TGID_Y_EN: 0
; COMPUTE_PGM_RSRC2:TGID_Z_EN: 0
; COMPUTE_PGM_RSRC2:TIDIG_COMP_CNT: 0
	.section	.text._ZN9rocsparseL22gebsrmvn_mxn_16_kernelILj56ELj14ELj2EdEEvi20rocsparse_direction_NS_24const_host_device_scalarIT2_EEPKiS6_PKS3_iiS8_S4_PS3_21rocsparse_index_base_b,"axG",@progbits,_ZN9rocsparseL22gebsrmvn_mxn_16_kernelILj56ELj14ELj2EdEEvi20rocsparse_direction_NS_24const_host_device_scalarIT2_EEPKiS6_PKS3_iiS8_S4_PS3_21rocsparse_index_base_b,comdat
	.globl	_ZN9rocsparseL22gebsrmvn_mxn_16_kernelILj56ELj14ELj2EdEEvi20rocsparse_direction_NS_24const_host_device_scalarIT2_EEPKiS6_PKS3_iiS8_S4_PS3_21rocsparse_index_base_b ; -- Begin function _ZN9rocsparseL22gebsrmvn_mxn_16_kernelILj56ELj14ELj2EdEEvi20rocsparse_direction_NS_24const_host_device_scalarIT2_EEPKiS6_PKS3_iiS8_S4_PS3_21rocsparse_index_base_b
	.p2align	8
	.type	_ZN9rocsparseL22gebsrmvn_mxn_16_kernelILj56ELj14ELj2EdEEvi20rocsparse_direction_NS_24const_host_device_scalarIT2_EEPKiS6_PKS3_iiS8_S4_PS3_21rocsparse_index_base_b,@function
_ZN9rocsparseL22gebsrmvn_mxn_16_kernelILj56ELj14ELj2EdEEvi20rocsparse_direction_NS_24const_host_device_scalarIT2_EEPKiS6_PKS3_iiS8_S4_PS3_21rocsparse_index_base_b: ; @_ZN9rocsparseL22gebsrmvn_mxn_16_kernelILj56ELj14ELj2EdEEvi20rocsparse_direction_NS_24const_host_device_scalarIT2_EEPKiS6_PKS3_iiS8_S4_PS3_21rocsparse_index_base_b
; %bb.0:
	s_clause 0x2
	s_load_b64 s[10:11], s[0:1], 0x48
	s_load_b64 s[4:5], s[0:1], 0x8
	;; [unrolled: 1-line block ×3, first 2 shown]
	s_mov_b32 s8, s15
	s_waitcnt lgkmcnt(0)
	s_bitcmp1_b32 s11, 0
	v_dual_mov_b32 v3, s4 :: v_dual_mov_b32 v4, s5
	s_cselect_b32 s6, -1, 0
	s_delay_alu instid0(SALU_CYCLE_1)
	s_and_b32 vcc_lo, exec_lo, s6
	s_xor_b32 s6, s6, -1
	s_cbranch_vccnz .LBB45_2
; %bb.1:
	v_dual_mov_b32 v1, s4 :: v_dual_mov_b32 v2, s5
	flat_load_b64 v[3:4], v[1:2]
.LBB45_2:
	v_dual_mov_b32 v1, s2 :: v_dual_mov_b32 v2, s3
	s_and_not1_b32 vcc_lo, exec_lo, s6
	s_cbranch_vccnz .LBB45_4
; %bb.3:
	v_dual_mov_b32 v1, s2 :: v_dual_mov_b32 v2, s3
	flat_load_b64 v[1:2], v[1:2]
.LBB45_4:
	s_waitcnt vmcnt(0) lgkmcnt(0)
	v_cmp_neq_f64_e32 vcc_lo, 0, v[3:4]
	v_cmp_neq_f64_e64 s2, 1.0, v[1:2]
	s_delay_alu instid0(VALU_DEP_1) | instskip(NEXT) | instid1(SALU_CYCLE_1)
	s_or_b32 s2, vcc_lo, s2
	s_and_saveexec_b32 s3, s2
	s_cbranch_execz .LBB45_31
; %bb.5:
	s_clause 0x1
	s_load_b32 s4, s[0:1], 0x4
	s_load_b64 s[2:3], s[0:1], 0x10
	v_and_b32_e32 v11, 1, v0
	s_delay_alu instid0(VALU_DEP_1) | instskip(SKIP_3) | instid1(SALU_CYCLE_1)
	v_mov_b32_e32 v12, v11
	s_waitcnt lgkmcnt(0)
	s_cmp_lg_u32 s4, 1
	s_cselect_b32 s11, -1, 0
	s_and_b32 vcc_lo, exec_lo, s11
	s_cbranch_vccnz .LBB45_7
; %bb.6:
	v_mul_u32_u24_e32 v5, 0x124a, v0
	s_delay_alu instid0(VALU_DEP_1)
	v_bfe_u32 v12, v5, 16, 1
.LBB45_7:
	s_ashr_i32 s9, s8, 31
	v_mov_b32_e32 v5, 0
	s_lshl_b64 s[4:5], s[8:9], 2
	v_mov_b32_e32 v6, 0
	s_add_u32 s2, s2, s4
	s_addc_u32 s3, s3, s5
	s_load_b64 s[12:13], s[2:3], 0x0
	s_load_b64 s[2:3], s[0:1], 0x40
	s_waitcnt lgkmcnt(0)
	s_cmp_ge_i32 s12, s13
	s_cbranch_scc1 .LBB45_12
; %bb.8:
	s_clause 0x1
	s_load_b128 s[4:7], s[0:1], 0x18
	s_load_b64 s[0:1], s[0:1], 0x30
	v_mad_u64_u32 v[5:6], null, s12, 28, v[0:1]
	v_mul_u32_u24_e32 v6, 0x925, v0
	s_mul_i32 s9, s10, 28
	s_sub_i32 s12, s12, s10
	v_mov_b32_e32 v8, 0
	s_delay_alu instid0(VALU_DEP_2) | instskip(NEXT) | instid1(VALU_DEP_4)
	v_lshrrev_b32_e32 v13, 16, v6
	v_subrev_nc_u32_e32 v7, s9, v5
	v_mov_b32_e32 v5, 0
	v_mov_b32_e32 v6, 0
	s_sub_i32 s9, s13, s10
	s_set_inst_prefetch_distance 0x1
	s_branch .LBB45_10
	.p2align	6
.LBB45_9:                               ;   in Loop: Header=BB45_10 Depth=1
	s_or_b32 exec_lo, exec_lo, s13
	v_add_nc_u32_e32 v7, 56, v7
	s_add_i32 s12, s12, 2
	s_delay_alu instid0(SALU_CYCLE_1)
	s_cmp_ge_i32 s12, s9
	s_cbranch_scc1 .LBB45_12
.LBB45_10:                              ; =>This Inner Loop Header: Depth=1
	v_add_nc_u32_e32 v9, s12, v13
	s_mov_b32 s13, exec_lo
	s_delay_alu instid0(VALU_DEP_1)
	v_cmpx_gt_i32_e64 s9, v9
	s_cbranch_execz .LBB45_9
; %bb.11:                               ;   in Loop: Header=BB45_10 Depth=1
	v_ashrrev_i32_e32 v10, 31, v9
	v_lshlrev_b64 v[14:15], 3, v[7:8]
	s_delay_alu instid0(VALU_DEP_2) | instskip(SKIP_1) | instid1(VALU_DEP_1)
	v_lshlrev_b64 v[9:10], 2, v[9:10]
	s_waitcnt lgkmcnt(0)
	v_add_co_u32 v9, vcc_lo, s4, v9
	s_delay_alu instid0(VALU_DEP_2) | instskip(NEXT) | instid1(VALU_DEP_4)
	v_add_co_ci_u32_e32 v10, vcc_lo, s5, v10, vcc_lo
	v_add_co_u32 v14, vcc_lo, s6, v14
	v_add_co_ci_u32_e32 v15, vcc_lo, s7, v15, vcc_lo
	global_load_b32 v9, v[9:10], off
	s_waitcnt vmcnt(0)
	v_subrev_nc_u32_e32 v9, s10, v9
	s_delay_alu instid0(VALU_DEP_1) | instskip(NEXT) | instid1(VALU_DEP_1)
	v_lshl_or_b32 v9, v9, 1, v12
	v_ashrrev_i32_e32 v10, 31, v9
	s_delay_alu instid0(VALU_DEP_1) | instskip(NEXT) | instid1(VALU_DEP_1)
	v_lshlrev_b64 v[9:10], 3, v[9:10]
	v_add_co_u32 v9, vcc_lo, s0, v9
	s_delay_alu instid0(VALU_DEP_2)
	v_add_co_ci_u32_e32 v10, vcc_lo, s1, v10, vcc_lo
	global_load_b64 v[14:15], v[14:15], off
	global_load_b64 v[9:10], v[9:10], off
	s_waitcnt vmcnt(0)
	v_fma_f64 v[5:6], v[14:15], v[9:10], v[5:6]
	s_branch .LBB45_9
.LBB45_12:
	s_set_inst_prefetch_distance 0x2
	v_lshlrev_b32_e32 v9, 3, v0
	s_waitcnt lgkmcnt(0)
	s_mov_b32 s0, exec_lo
	ds_store_b64 v9, v[5:6]
	s_waitcnt lgkmcnt(0)
	s_barrier
	buffer_gl0_inv
	v_cmpx_gt_u32_e32 28, v0
	s_cbranch_execz .LBB45_14
; %bb.13:
	ds_load_2addr_b64 v[12:15], v9 offset1:28
	s_waitcnt lgkmcnt(0)
	v_add_f64 v[7:8], v[14:15], v[12:13]
	ds_store_b64 v9, v[7:8]
.LBB45_14:
	s_or_b32 exec_lo, exec_lo, s0
	s_delay_alu instid0(SALU_CYCLE_1)
	s_and_b32 vcc_lo, exec_lo, s11
	s_waitcnt lgkmcnt(0)
	s_barrier
	buffer_gl0_inv
	s_cbranch_vccz .LBB45_20
; %bb.15:
	s_mov_b32 s0, exec_lo
	v_cmpx_eq_u32_e32 0, v11
	s_cbranch_execz .LBB45_17
; %bb.16:
	ds_load_2addr_b64 v[10:13], v9 offset1:1
	s_waitcnt lgkmcnt(0)
	v_add_f64 v[7:8], v[12:13], v[10:11]
	ds_store_b64 v9, v[7:8]
.LBB45_17:
	s_or_b32 exec_lo, exec_lo, s0
	v_dual_mov_b32 v8, v6 :: v_dual_mov_b32 v7, v5
	s_mov_b32 s0, exec_lo
	s_waitcnt lgkmcnt(0)
	s_barrier
	buffer_gl0_inv
	v_cmpx_gt_u32_e32 14, v0
	s_cbranch_execz .LBB45_19
; %bb.18:
	v_lshl_add_u32 v7, v0, 3, v9
	ds_load_b64 v[7:8], v7
.LBB45_19:
	s_or_b32 exec_lo, exec_lo, s0
	s_branch .LBB45_26
.LBB45_20:
                                        ; implicit-def: $vgpr7_vgpr8
	s_cbranch_execz .LBB45_26
; %bb.21:
	s_mov_b32 s0, exec_lo
	v_cmpx_lt_u32_e32 13, v0
	s_xor_b32 s0, exec_lo, s0
	s_cbranch_execz .LBB45_23
; %bb.22:
	s_waitcnt lgkmcnt(0)
	buffer_gl0_inv
                                        ; implicit-def: $vgpr9
.LBB45_23:
	s_and_not1_saveexec_b32 s0, s0
	s_cbranch_execz .LBB45_25
; %bb.24:
	s_waitcnt lgkmcnt(0)
	ds_load_2addr_b64 v[5:8], v9 offset1:14
	s_waitcnt lgkmcnt(0)
	v_add_f64 v[5:6], v[7:8], v[5:6]
	ds_store_b64 v9, v[5:6]
	s_waitcnt lgkmcnt(0)
	buffer_gl0_inv
	ds_load_b64 v[5:6], v9
.LBB45_25:
	s_or_b32 exec_lo, exec_lo, s0
	s_waitcnt lgkmcnt(0)
	v_dual_mov_b32 v8, v6 :: v_dual_mov_b32 v7, v5
.LBB45_26:
	v_cmp_gt_u32_e32 vcc_lo, 14, v0
	s_and_b32 exec_lo, exec_lo, vcc_lo
	s_cbranch_execz .LBB45_31
; %bb.27:
	s_waitcnt lgkmcnt(0)
	v_mul_f64 v[3:4], v[3:4], v[7:8]
	s_mov_b32 s0, exec_lo
	v_cmpx_eq_f64_e32 0, v[1:2]
	s_xor_b32 s0, exec_lo, s0
	s_cbranch_execz .LBB45_29
; %bb.28:
	v_mad_u64_u32 v[1:2], null, s8, 14, v[0:1]
	v_mov_b32_e32 v2, 0
	s_delay_alu instid0(VALU_DEP_1) | instskip(NEXT) | instid1(VALU_DEP_1)
	v_lshlrev_b64 v[0:1], 3, v[1:2]
	v_add_co_u32 v0, vcc_lo, s2, v0
	s_delay_alu instid0(VALU_DEP_2)
	v_add_co_ci_u32_e32 v1, vcc_lo, s3, v1, vcc_lo
	global_store_b64 v[0:1], v[3:4], off
                                        ; implicit-def: $vgpr0
                                        ; implicit-def: $vgpr1_vgpr2
                                        ; implicit-def: $vgpr3_vgpr4
.LBB45_29:
	s_and_not1_saveexec_b32 s0, s0
	s_cbranch_execz .LBB45_31
; %bb.30:
	v_mad_u64_u32 v[5:6], null, s8, 14, v[0:1]
	v_mov_b32_e32 v6, 0
	s_delay_alu instid0(VALU_DEP_1) | instskip(NEXT) | instid1(VALU_DEP_1)
	v_lshlrev_b64 v[5:6], 3, v[5:6]
	v_add_co_u32 v5, vcc_lo, s2, v5
	s_delay_alu instid0(VALU_DEP_2)
	v_add_co_ci_u32_e32 v6, vcc_lo, s3, v6, vcc_lo
	global_load_b64 v[7:8], v[5:6], off
	s_waitcnt vmcnt(0)
	v_fma_f64 v[0:1], v[1:2], v[7:8], v[3:4]
	global_store_b64 v[5:6], v[0:1], off
.LBB45_31:
	s_nop 0
	s_sendmsg sendmsg(MSG_DEALLOC_VGPRS)
	s_endpgm
	.section	.rodata,"a",@progbits
	.p2align	6, 0x0
	.amdhsa_kernel _ZN9rocsparseL22gebsrmvn_mxn_16_kernelILj56ELj14ELj2EdEEvi20rocsparse_direction_NS_24const_host_device_scalarIT2_EEPKiS6_PKS3_iiS8_S4_PS3_21rocsparse_index_base_b
		.amdhsa_group_segment_fixed_size 448
		.amdhsa_private_segment_fixed_size 0
		.amdhsa_kernarg_size 80
		.amdhsa_user_sgpr_count 15
		.amdhsa_user_sgpr_dispatch_ptr 0
		.amdhsa_user_sgpr_queue_ptr 0
		.amdhsa_user_sgpr_kernarg_segment_ptr 1
		.amdhsa_user_sgpr_dispatch_id 0
		.amdhsa_user_sgpr_private_segment_size 0
		.amdhsa_wavefront_size32 1
		.amdhsa_uses_dynamic_stack 0
		.amdhsa_enable_private_segment 0
		.amdhsa_system_sgpr_workgroup_id_x 1
		.amdhsa_system_sgpr_workgroup_id_y 0
		.amdhsa_system_sgpr_workgroup_id_z 0
		.amdhsa_system_sgpr_workgroup_info 0
		.amdhsa_system_vgpr_workitem_id 0
		.amdhsa_next_free_vgpr 16
		.amdhsa_next_free_sgpr 16
		.amdhsa_reserve_vcc 1
		.amdhsa_float_round_mode_32 0
		.amdhsa_float_round_mode_16_64 0
		.amdhsa_float_denorm_mode_32 3
		.amdhsa_float_denorm_mode_16_64 3
		.amdhsa_dx10_clamp 1
		.amdhsa_ieee_mode 1
		.amdhsa_fp16_overflow 0
		.amdhsa_workgroup_processor_mode 1
		.amdhsa_memory_ordered 1
		.amdhsa_forward_progress 0
		.amdhsa_shared_vgpr_count 0
		.amdhsa_exception_fp_ieee_invalid_op 0
		.amdhsa_exception_fp_denorm_src 0
		.amdhsa_exception_fp_ieee_div_zero 0
		.amdhsa_exception_fp_ieee_overflow 0
		.amdhsa_exception_fp_ieee_underflow 0
		.amdhsa_exception_fp_ieee_inexact 0
		.amdhsa_exception_int_div_zero 0
	.end_amdhsa_kernel
	.section	.text._ZN9rocsparseL22gebsrmvn_mxn_16_kernelILj56ELj14ELj2EdEEvi20rocsparse_direction_NS_24const_host_device_scalarIT2_EEPKiS6_PKS3_iiS8_S4_PS3_21rocsparse_index_base_b,"axG",@progbits,_ZN9rocsparseL22gebsrmvn_mxn_16_kernelILj56ELj14ELj2EdEEvi20rocsparse_direction_NS_24const_host_device_scalarIT2_EEPKiS6_PKS3_iiS8_S4_PS3_21rocsparse_index_base_b,comdat
.Lfunc_end45:
	.size	_ZN9rocsparseL22gebsrmvn_mxn_16_kernelILj56ELj14ELj2EdEEvi20rocsparse_direction_NS_24const_host_device_scalarIT2_EEPKiS6_PKS3_iiS8_S4_PS3_21rocsparse_index_base_b, .Lfunc_end45-_ZN9rocsparseL22gebsrmvn_mxn_16_kernelILj56ELj14ELj2EdEEvi20rocsparse_direction_NS_24const_host_device_scalarIT2_EEPKiS6_PKS3_iiS8_S4_PS3_21rocsparse_index_base_b
                                        ; -- End function
	.section	.AMDGPU.csdata,"",@progbits
; Kernel info:
; codeLenInByte = 1044
; NumSgprs: 18
; NumVgprs: 16
; ScratchSize: 0
; MemoryBound: 0
; FloatMode: 240
; IeeeMode: 1
; LDSByteSize: 448 bytes/workgroup (compile time only)
; SGPRBlocks: 2
; VGPRBlocks: 1
; NumSGPRsForWavesPerEU: 18
; NumVGPRsForWavesPerEU: 16
; Occupancy: 16
; WaveLimiterHint : 1
; COMPUTE_PGM_RSRC2:SCRATCH_EN: 0
; COMPUTE_PGM_RSRC2:USER_SGPR: 15
; COMPUTE_PGM_RSRC2:TRAP_HANDLER: 0
; COMPUTE_PGM_RSRC2:TGID_X_EN: 1
; COMPUTE_PGM_RSRC2:TGID_Y_EN: 0
; COMPUTE_PGM_RSRC2:TGID_Z_EN: 0
; COMPUTE_PGM_RSRC2:TIDIG_COMP_CNT: 0
	.section	.text._ZN9rocsparseL22gebsrmvn_mxn_16_kernelILj42ELj14ELj3EdEEvi20rocsparse_direction_NS_24const_host_device_scalarIT2_EEPKiS6_PKS3_iiS8_S4_PS3_21rocsparse_index_base_b,"axG",@progbits,_ZN9rocsparseL22gebsrmvn_mxn_16_kernelILj42ELj14ELj3EdEEvi20rocsparse_direction_NS_24const_host_device_scalarIT2_EEPKiS6_PKS3_iiS8_S4_PS3_21rocsparse_index_base_b,comdat
	.globl	_ZN9rocsparseL22gebsrmvn_mxn_16_kernelILj42ELj14ELj3EdEEvi20rocsparse_direction_NS_24const_host_device_scalarIT2_EEPKiS6_PKS3_iiS8_S4_PS3_21rocsparse_index_base_b ; -- Begin function _ZN9rocsparseL22gebsrmvn_mxn_16_kernelILj42ELj14ELj3EdEEvi20rocsparse_direction_NS_24const_host_device_scalarIT2_EEPKiS6_PKS3_iiS8_S4_PS3_21rocsparse_index_base_b
	.p2align	8
	.type	_ZN9rocsparseL22gebsrmvn_mxn_16_kernelILj42ELj14ELj3EdEEvi20rocsparse_direction_NS_24const_host_device_scalarIT2_EEPKiS6_PKS3_iiS8_S4_PS3_21rocsparse_index_base_b,@function
_ZN9rocsparseL22gebsrmvn_mxn_16_kernelILj42ELj14ELj3EdEEvi20rocsparse_direction_NS_24const_host_device_scalarIT2_EEPKiS6_PKS3_iiS8_S4_PS3_21rocsparse_index_base_b: ; @_ZN9rocsparseL22gebsrmvn_mxn_16_kernelILj42ELj14ELj3EdEEvi20rocsparse_direction_NS_24const_host_device_scalarIT2_EEPKiS6_PKS3_iiS8_S4_PS3_21rocsparse_index_base_b
; %bb.0:
	s_clause 0x2
	s_load_b64 s[10:11], s[0:1], 0x48
	s_load_b64 s[4:5], s[0:1], 0x8
	;; [unrolled: 1-line block ×3, first 2 shown]
	s_mov_b32 s8, s15
	s_waitcnt lgkmcnt(0)
	s_bitcmp1_b32 s11, 0
	v_dual_mov_b32 v3, s4 :: v_dual_mov_b32 v4, s5
	s_cselect_b32 s6, -1, 0
	s_delay_alu instid0(SALU_CYCLE_1)
	s_and_b32 vcc_lo, exec_lo, s6
	s_xor_b32 s6, s6, -1
	s_cbranch_vccnz .LBB46_2
; %bb.1:
	v_dual_mov_b32 v1, s4 :: v_dual_mov_b32 v2, s5
	flat_load_b64 v[3:4], v[1:2]
.LBB46_2:
	v_dual_mov_b32 v1, s2 :: v_dual_mov_b32 v2, s3
	s_and_not1_b32 vcc_lo, exec_lo, s6
	s_cbranch_vccnz .LBB46_4
; %bb.3:
	v_dual_mov_b32 v1, s2 :: v_dual_mov_b32 v2, s3
	flat_load_b64 v[1:2], v[1:2]
.LBB46_4:
	s_waitcnt vmcnt(0) lgkmcnt(0)
	v_cmp_neq_f64_e32 vcc_lo, 0, v[3:4]
	v_cmp_neq_f64_e64 s2, 1.0, v[1:2]
	s_delay_alu instid0(VALU_DEP_1) | instskip(NEXT) | instid1(SALU_CYCLE_1)
	s_or_b32 s2, vcc_lo, s2
	s_and_saveexec_b32 s3, s2
	s_cbranch_execz .LBB46_33
; %bb.5:
	v_mul_u32_u24_e32 v5, 0x5556, v0
	s_clause 0x1
	s_load_b32 s4, s[0:1], 0x4
	s_load_b64 s[2:3], s[0:1], 0x10
	s_delay_alu instid0(VALU_DEP_1) | instskip(NEXT) | instid1(VALU_DEP_1)
	v_lshrrev_b32_e32 v5, 16, v5
	v_mul_lo_u16 v5, v5, 3
	s_delay_alu instid0(VALU_DEP_1) | instskip(NEXT) | instid1(VALU_DEP_1)
	v_sub_nc_u16 v5, v0, v5
	v_and_b32_e32 v12, 0xffff, v5
	s_waitcnt lgkmcnt(0)
	s_cmp_lg_u32 s4, 1
	v_and_b32_e32 v8, 0xffff, v0
	s_cselect_b32 s11, -1, 0
	v_mov_b32_e32 v7, v12
	s_and_b32 vcc_lo, exec_lo, s11
	s_cbranch_vccnz .LBB46_7
; %bb.6:
	v_mul_u32_u24_e32 v5, 0x124a, v8
	s_delay_alu instid0(VALU_DEP_1) | instskip(NEXT) | instid1(VALU_DEP_1)
	v_lshrrev_b32_e32 v5, 16, v5
	v_mul_lo_u16 v6, 0x56, v5
	s_delay_alu instid0(VALU_DEP_1) | instskip(NEXT) | instid1(VALU_DEP_1)
	v_lshrrev_b16 v6, 8, v6
	v_mul_lo_u16 v6, v6, 3
	s_delay_alu instid0(VALU_DEP_1) | instskip(NEXT) | instid1(VALU_DEP_1)
	v_sub_nc_u16 v5, v5, v6
	v_and_b32_e32 v7, 0xff, v5
.LBB46_7:
	s_ashr_i32 s9, s8, 31
	v_mov_b32_e32 v5, 0
	s_lshl_b64 s[4:5], s[8:9], 2
	v_mov_b32_e32 v6, 0
	s_add_u32 s2, s2, s4
	s_addc_u32 s3, s3, s5
	s_load_b64 s[12:13], s[2:3], 0x0
	s_load_b64 s[2:3], s[0:1], 0x40
	s_waitcnt lgkmcnt(0)
	s_cmp_ge_i32 s12, s13
	s_cbranch_scc1 .LBB46_12
; %bb.8:
	s_clause 0x1
	s_load_b128 s[4:7], s[0:1], 0x18
	s_load_b64 s[0:1], s[0:1], 0x30
	v_mad_u64_u32 v[5:6], null, s12, 42, v[0:1]
	v_mul_u32_u24_e32 v6, 0x619, v8
	s_mul_i32 s9, s10, 42
	s_sub_i32 s12, s12, s10
	v_mov_b32_e32 v9, 0
	s_delay_alu instid0(VALU_DEP_2) | instskip(NEXT) | instid1(VALU_DEP_4)
	v_lshrrev_b32_e32 v13, 16, v6
	v_subrev_nc_u32_e32 v8, s9, v5
	v_mov_b32_e32 v5, 0
	v_mov_b32_e32 v6, 0
	s_sub_i32 s9, s13, s10
	s_set_inst_prefetch_distance 0x1
	s_branch .LBB46_10
	.p2align	6
.LBB46_9:                               ;   in Loop: Header=BB46_10 Depth=1
	s_or_b32 exec_lo, exec_lo, s13
	v_add_nc_u32_e32 v8, 42, v8
	s_add_i32 s12, s12, 1
	s_delay_alu instid0(SALU_CYCLE_1)
	s_cmp_ge_i32 s12, s9
	s_cbranch_scc1 .LBB46_12
.LBB46_10:                              ; =>This Inner Loop Header: Depth=1
	v_add_nc_u32_e32 v10, s12, v13
	s_mov_b32 s13, exec_lo
	s_delay_alu instid0(VALU_DEP_1)
	v_cmpx_gt_i32_e64 s9, v10
	s_cbranch_execz .LBB46_9
; %bb.11:                               ;   in Loop: Header=BB46_10 Depth=1
	v_ashrrev_i32_e32 v11, 31, v10
	s_delay_alu instid0(VALU_DEP_1) | instskip(SKIP_1) | instid1(VALU_DEP_1)
	v_lshlrev_b64 v[10:11], 2, v[10:11]
	s_waitcnt lgkmcnt(0)
	v_add_co_u32 v10, vcc_lo, s4, v10
	s_delay_alu instid0(VALU_DEP_2) | instskip(SKIP_3) | instid1(VALU_DEP_1)
	v_add_co_ci_u32_e32 v11, vcc_lo, s5, v11, vcc_lo
	global_load_b32 v10, v[10:11], off
	s_waitcnt vmcnt(0)
	v_subrev_nc_u32_e32 v14, s10, v10
	v_mad_u64_u32 v[10:11], null, v14, 3, v[7:8]
	v_lshlrev_b64 v[14:15], 3, v[8:9]
	s_delay_alu instid0(VALU_DEP_1) | instskip(NEXT) | instid1(VALU_DEP_3)
	v_add_co_u32 v14, vcc_lo, s6, v14
	v_ashrrev_i32_e32 v11, 31, v10
	s_delay_alu instid0(VALU_DEP_3) | instskip(NEXT) | instid1(VALU_DEP_2)
	v_add_co_ci_u32_e32 v15, vcc_lo, s7, v15, vcc_lo
	v_lshlrev_b64 v[10:11], 3, v[10:11]
	s_delay_alu instid0(VALU_DEP_1) | instskip(NEXT) | instid1(VALU_DEP_2)
	v_add_co_u32 v10, vcc_lo, s0, v10
	v_add_co_ci_u32_e32 v11, vcc_lo, s1, v11, vcc_lo
	global_load_b64 v[14:15], v[14:15], off
	global_load_b64 v[10:11], v[10:11], off
	s_waitcnt vmcnt(0)
	v_fma_f64 v[5:6], v[14:15], v[10:11], v[5:6]
	s_branch .LBB46_9
.LBB46_12:
	s_set_inst_prefetch_distance 0x2
	v_lshlrev_b32_e32 v9, 3, v0
	s_and_b32 vcc_lo, exec_lo, s11
	ds_store_b64 v9, v[5:6]
	s_waitcnt lgkmcnt(0)
	s_barrier
	buffer_gl0_inv
	s_cbranch_vccz .LBB46_20
; %bb.13:
	v_cmp_eq_u16_e32 vcc_lo, 0, v12
	s_and_saveexec_b32 s0, vcc_lo
	s_cbranch_execz .LBB46_15
; %bb.14:
	ds_load_2addr_b64 v[10:13], v9 offset1:2
	s_waitcnt lgkmcnt(0)
	v_add_f64 v[7:8], v[12:13], v[10:11]
	ds_store_b64 v9, v[7:8]
.LBB46_15:
	s_or_b32 exec_lo, exec_lo, s0
	s_waitcnt lgkmcnt(0)
	s_barrier
	buffer_gl0_inv
	s_and_saveexec_b32 s0, vcc_lo
	s_cbranch_execz .LBB46_17
; %bb.16:
	ds_load_2addr_b64 v[10:13], v9 offset1:1
	s_waitcnt lgkmcnt(0)
	v_add_f64 v[7:8], v[12:13], v[10:11]
	ds_store_b64 v9, v[7:8]
.LBB46_17:
	s_or_b32 exec_lo, exec_lo, s0
	v_dual_mov_b32 v8, v6 :: v_dual_mov_b32 v7, v5
	s_mov_b32 s0, exec_lo
	s_waitcnt lgkmcnt(0)
	s_barrier
	buffer_gl0_inv
	v_cmpx_gt_u32_e32 14, v0
	s_cbranch_execz .LBB46_19
; %bb.18:
	v_lshl_add_u32 v7, v0, 4, v9
	ds_load_b64 v[7:8], v7
.LBB46_19:
	s_or_b32 exec_lo, exec_lo, s0
	v_cmp_gt_u32_e64 s0, 14, v0
	s_branch .LBB46_28
.LBB46_20:
                                        ; implicit-def: $vgpr7_vgpr8
	v_cmp_gt_u32_e64 s0, 14, v0
	s_cbranch_execz .LBB46_28
; %bb.21:
	v_cmp_lt_u32_e32 vcc_lo, 13, v0
	s_delay_alu instid0(VALU_DEP_2)
	s_and_saveexec_b32 s1, s0
	s_cbranch_execz .LBB46_23
; %bb.22:
	ds_load_2addr_b64 v[10:13], v9 offset1:28
	s_waitcnt lgkmcnt(0)
	v_add_f64 v[7:8], v[12:13], v[10:11]
	ds_store_b64 v9, v[7:8]
.LBB46_23:
	s_or_b32 exec_lo, exec_lo, s1
	s_waitcnt lgkmcnt(0)
	s_barrier
	buffer_gl0_inv
	s_and_saveexec_b32 s0, vcc_lo
	s_delay_alu instid0(SALU_CYCLE_1)
	s_xor_b32 s0, exec_lo, s0
	s_cbranch_execz .LBB46_25
; %bb.24:
	buffer_gl0_inv
                                        ; implicit-def: $vgpr9
.LBB46_25:
	s_and_not1_saveexec_b32 s0, s0
	s_cbranch_execz .LBB46_27
; %bb.26:
	ds_load_2addr_b64 v[5:8], v9 offset1:14
	s_waitcnt lgkmcnt(0)
	v_add_f64 v[5:6], v[7:8], v[5:6]
	ds_store_b64 v9, v[5:6]
	s_waitcnt lgkmcnt(0)
	buffer_gl0_inv
	ds_load_b64 v[5:6], v9
.LBB46_27:
	s_or_b32 exec_lo, exec_lo, s0
	s_waitcnt lgkmcnt(0)
	v_dual_mov_b32 v8, v6 :: v_dual_mov_b32 v7, v5
.LBB46_28:
	v_cmp_gt_u32_e32 vcc_lo, 14, v0
	s_and_b32 exec_lo, exec_lo, vcc_lo
	s_cbranch_execz .LBB46_33
; %bb.29:
	s_waitcnt lgkmcnt(0)
	v_mul_f64 v[3:4], v[3:4], v[7:8]
	s_mov_b32 s0, exec_lo
	v_cmpx_eq_f64_e32 0, v[1:2]
	s_xor_b32 s0, exec_lo, s0
	s_cbranch_execz .LBB46_31
; %bb.30:
	v_mad_u64_u32 v[1:2], null, s8, 14, v[0:1]
	v_mov_b32_e32 v2, 0
	s_delay_alu instid0(VALU_DEP_1) | instskip(NEXT) | instid1(VALU_DEP_1)
	v_lshlrev_b64 v[0:1], 3, v[1:2]
	v_add_co_u32 v0, vcc_lo, s2, v0
	s_delay_alu instid0(VALU_DEP_2)
	v_add_co_ci_u32_e32 v1, vcc_lo, s3, v1, vcc_lo
	global_store_b64 v[0:1], v[3:4], off
                                        ; implicit-def: $vgpr0
                                        ; implicit-def: $vgpr1_vgpr2
                                        ; implicit-def: $vgpr3_vgpr4
.LBB46_31:
	s_and_not1_saveexec_b32 s0, s0
	s_cbranch_execz .LBB46_33
; %bb.32:
	v_mad_u64_u32 v[5:6], null, s8, 14, v[0:1]
	v_mov_b32_e32 v6, 0
	s_delay_alu instid0(VALU_DEP_1) | instskip(NEXT) | instid1(VALU_DEP_1)
	v_lshlrev_b64 v[5:6], 3, v[5:6]
	v_add_co_u32 v5, vcc_lo, s2, v5
	s_delay_alu instid0(VALU_DEP_2)
	v_add_co_ci_u32_e32 v6, vcc_lo, s3, v6, vcc_lo
	global_load_b64 v[7:8], v[5:6], off
	s_waitcnt vmcnt(0)
	v_fma_f64 v[0:1], v[1:2], v[7:8], v[3:4]
	global_store_b64 v[5:6], v[0:1], off
.LBB46_33:
	s_nop 0
	s_sendmsg sendmsg(MSG_DEALLOC_VGPRS)
	s_endpgm
	.section	.rodata,"a",@progbits
	.p2align	6, 0x0
	.amdhsa_kernel _ZN9rocsparseL22gebsrmvn_mxn_16_kernelILj42ELj14ELj3EdEEvi20rocsparse_direction_NS_24const_host_device_scalarIT2_EEPKiS6_PKS3_iiS8_S4_PS3_21rocsparse_index_base_b
		.amdhsa_group_segment_fixed_size 336
		.amdhsa_private_segment_fixed_size 0
		.amdhsa_kernarg_size 80
		.amdhsa_user_sgpr_count 15
		.amdhsa_user_sgpr_dispatch_ptr 0
		.amdhsa_user_sgpr_queue_ptr 0
		.amdhsa_user_sgpr_kernarg_segment_ptr 1
		.amdhsa_user_sgpr_dispatch_id 0
		.amdhsa_user_sgpr_private_segment_size 0
		.amdhsa_wavefront_size32 1
		.amdhsa_uses_dynamic_stack 0
		.amdhsa_enable_private_segment 0
		.amdhsa_system_sgpr_workgroup_id_x 1
		.amdhsa_system_sgpr_workgroup_id_y 0
		.amdhsa_system_sgpr_workgroup_id_z 0
		.amdhsa_system_sgpr_workgroup_info 0
		.amdhsa_system_vgpr_workitem_id 0
		.amdhsa_next_free_vgpr 16
		.amdhsa_next_free_sgpr 16
		.amdhsa_reserve_vcc 1
		.amdhsa_float_round_mode_32 0
		.amdhsa_float_round_mode_16_64 0
		.amdhsa_float_denorm_mode_32 3
		.amdhsa_float_denorm_mode_16_64 3
		.amdhsa_dx10_clamp 1
		.amdhsa_ieee_mode 1
		.amdhsa_fp16_overflow 0
		.amdhsa_workgroup_processor_mode 1
		.amdhsa_memory_ordered 1
		.amdhsa_forward_progress 0
		.amdhsa_shared_vgpr_count 0
		.amdhsa_exception_fp_ieee_invalid_op 0
		.amdhsa_exception_fp_denorm_src 0
		.amdhsa_exception_fp_ieee_div_zero 0
		.amdhsa_exception_fp_ieee_overflow 0
		.amdhsa_exception_fp_ieee_underflow 0
		.amdhsa_exception_fp_ieee_inexact 0
		.amdhsa_exception_int_div_zero 0
	.end_amdhsa_kernel
	.section	.text._ZN9rocsparseL22gebsrmvn_mxn_16_kernelILj42ELj14ELj3EdEEvi20rocsparse_direction_NS_24const_host_device_scalarIT2_EEPKiS6_PKS3_iiS8_S4_PS3_21rocsparse_index_base_b,"axG",@progbits,_ZN9rocsparseL22gebsrmvn_mxn_16_kernelILj42ELj14ELj3EdEEvi20rocsparse_direction_NS_24const_host_device_scalarIT2_EEPKiS6_PKS3_iiS8_S4_PS3_21rocsparse_index_base_b,comdat
.Lfunc_end46:
	.size	_ZN9rocsparseL22gebsrmvn_mxn_16_kernelILj42ELj14ELj3EdEEvi20rocsparse_direction_NS_24const_host_device_scalarIT2_EEPKiS6_PKS3_iiS8_S4_PS3_21rocsparse_index_base_b, .Lfunc_end46-_ZN9rocsparseL22gebsrmvn_mxn_16_kernelILj42ELj14ELj3EdEEvi20rocsparse_direction_NS_24const_host_device_scalarIT2_EEPKiS6_PKS3_iiS8_S4_PS3_21rocsparse_index_base_b
                                        ; -- End function
	.section	.AMDGPU.csdata,"",@progbits
; Kernel info:
; codeLenInByte = 1196
; NumSgprs: 18
; NumVgprs: 16
; ScratchSize: 0
; MemoryBound: 0
; FloatMode: 240
; IeeeMode: 1
; LDSByteSize: 336 bytes/workgroup (compile time only)
; SGPRBlocks: 2
; VGPRBlocks: 1
; NumSGPRsForWavesPerEU: 18
; NumVGPRsForWavesPerEU: 16
; Occupancy: 16
; WaveLimiterHint : 1
; COMPUTE_PGM_RSRC2:SCRATCH_EN: 0
; COMPUTE_PGM_RSRC2:USER_SGPR: 15
; COMPUTE_PGM_RSRC2:TRAP_HANDLER: 0
; COMPUTE_PGM_RSRC2:TGID_X_EN: 1
; COMPUTE_PGM_RSRC2:TGID_Y_EN: 0
; COMPUTE_PGM_RSRC2:TGID_Z_EN: 0
; COMPUTE_PGM_RSRC2:TIDIG_COMP_CNT: 0
	.section	.text._ZN9rocsparseL22gebsrmvn_mxn_16_kernelILj56ELj14ELj4EdEEvi20rocsparse_direction_NS_24const_host_device_scalarIT2_EEPKiS6_PKS3_iiS8_S4_PS3_21rocsparse_index_base_b,"axG",@progbits,_ZN9rocsparseL22gebsrmvn_mxn_16_kernelILj56ELj14ELj4EdEEvi20rocsparse_direction_NS_24const_host_device_scalarIT2_EEPKiS6_PKS3_iiS8_S4_PS3_21rocsparse_index_base_b,comdat
	.globl	_ZN9rocsparseL22gebsrmvn_mxn_16_kernelILj56ELj14ELj4EdEEvi20rocsparse_direction_NS_24const_host_device_scalarIT2_EEPKiS6_PKS3_iiS8_S4_PS3_21rocsparse_index_base_b ; -- Begin function _ZN9rocsparseL22gebsrmvn_mxn_16_kernelILj56ELj14ELj4EdEEvi20rocsparse_direction_NS_24const_host_device_scalarIT2_EEPKiS6_PKS3_iiS8_S4_PS3_21rocsparse_index_base_b
	.p2align	8
	.type	_ZN9rocsparseL22gebsrmvn_mxn_16_kernelILj56ELj14ELj4EdEEvi20rocsparse_direction_NS_24const_host_device_scalarIT2_EEPKiS6_PKS3_iiS8_S4_PS3_21rocsparse_index_base_b,@function
_ZN9rocsparseL22gebsrmvn_mxn_16_kernelILj56ELj14ELj4EdEEvi20rocsparse_direction_NS_24const_host_device_scalarIT2_EEPKiS6_PKS3_iiS8_S4_PS3_21rocsparse_index_base_b: ; @_ZN9rocsparseL22gebsrmvn_mxn_16_kernelILj56ELj14ELj4EdEEvi20rocsparse_direction_NS_24const_host_device_scalarIT2_EEPKiS6_PKS3_iiS8_S4_PS3_21rocsparse_index_base_b
; %bb.0:
	s_clause 0x2
	s_load_b64 s[10:11], s[0:1], 0x48
	s_load_b64 s[4:5], s[0:1], 0x8
	;; [unrolled: 1-line block ×3, first 2 shown]
	s_mov_b32 s8, s15
	s_waitcnt lgkmcnt(0)
	s_bitcmp1_b32 s11, 0
	v_dual_mov_b32 v3, s4 :: v_dual_mov_b32 v4, s5
	s_cselect_b32 s6, -1, 0
	s_delay_alu instid0(SALU_CYCLE_1)
	s_and_b32 vcc_lo, exec_lo, s6
	s_xor_b32 s6, s6, -1
	s_cbranch_vccnz .LBB47_2
; %bb.1:
	v_dual_mov_b32 v1, s4 :: v_dual_mov_b32 v2, s5
	flat_load_b64 v[3:4], v[1:2]
.LBB47_2:
	v_dual_mov_b32 v1, s2 :: v_dual_mov_b32 v2, s3
	s_and_not1_b32 vcc_lo, exec_lo, s6
	s_cbranch_vccnz .LBB47_4
; %bb.3:
	v_dual_mov_b32 v1, s2 :: v_dual_mov_b32 v2, s3
	flat_load_b64 v[1:2], v[1:2]
.LBB47_4:
	s_waitcnt vmcnt(0) lgkmcnt(0)
	v_cmp_neq_f64_e32 vcc_lo, 0, v[3:4]
	v_cmp_neq_f64_e64 s2, 1.0, v[1:2]
	s_delay_alu instid0(VALU_DEP_1) | instskip(NEXT) | instid1(SALU_CYCLE_1)
	s_or_b32 s2, vcc_lo, s2
	s_and_saveexec_b32 s3, s2
	s_cbranch_execz .LBB47_33
; %bb.5:
	s_clause 0x1
	s_load_b32 s4, s[0:1], 0x4
	s_load_b64 s[2:3], s[0:1], 0x10
	v_and_b32_e32 v11, 3, v0
	s_delay_alu instid0(VALU_DEP_1) | instskip(SKIP_3) | instid1(SALU_CYCLE_1)
	v_mov_b32_e32 v12, v11
	s_waitcnt lgkmcnt(0)
	s_cmp_lg_u32 s4, 1
	s_cselect_b32 s11, -1, 0
	s_and_b32 vcc_lo, exec_lo, s11
	s_cbranch_vccnz .LBB47_7
; %bb.6:
	v_mul_u32_u24_e32 v5, 0x124a, v0
	s_delay_alu instid0(VALU_DEP_1)
	v_bfe_u32 v12, v5, 16, 2
.LBB47_7:
	s_ashr_i32 s9, s8, 31
	v_mov_b32_e32 v5, 0
	s_lshl_b64 s[4:5], s[8:9], 2
	v_mov_b32_e32 v6, 0
	s_add_u32 s2, s2, s4
	s_addc_u32 s3, s3, s5
	s_load_b64 s[12:13], s[2:3], 0x0
	s_load_b64 s[2:3], s[0:1], 0x40
	s_waitcnt lgkmcnt(0)
	s_cmp_ge_i32 s12, s13
	s_cbranch_scc1 .LBB47_12
; %bb.8:
	s_clause 0x1
	s_load_b128 s[4:7], s[0:1], 0x18
	s_load_b64 s[0:1], s[0:1], 0x30
	v_mad_u64_u32 v[5:6], null, s12, 56, v[0:1]
	v_mul_u32_u24_e32 v6, 0x493, v0
	s_mul_i32 s9, s10, 56
	s_sub_i32 s12, s12, s10
	v_mov_b32_e32 v8, 0
	s_delay_alu instid0(VALU_DEP_2) | instskip(NEXT) | instid1(VALU_DEP_4)
	v_lshrrev_b32_e32 v13, 16, v6
	v_subrev_nc_u32_e32 v7, s9, v5
	v_mov_b32_e32 v5, 0
	v_mov_b32_e32 v6, 0
	s_sub_i32 s9, s13, s10
	s_set_inst_prefetch_distance 0x1
	s_branch .LBB47_10
	.p2align	6
.LBB47_9:                               ;   in Loop: Header=BB47_10 Depth=1
	s_or_b32 exec_lo, exec_lo, s13
	v_add_nc_u32_e32 v7, 56, v7
	s_add_i32 s12, s12, 1
	s_delay_alu instid0(SALU_CYCLE_1)
	s_cmp_ge_i32 s12, s9
	s_cbranch_scc1 .LBB47_12
.LBB47_10:                              ; =>This Inner Loop Header: Depth=1
	v_add_nc_u32_e32 v9, s12, v13
	s_mov_b32 s13, exec_lo
	s_delay_alu instid0(VALU_DEP_1)
	v_cmpx_gt_i32_e64 s9, v9
	s_cbranch_execz .LBB47_9
; %bb.11:                               ;   in Loop: Header=BB47_10 Depth=1
	v_ashrrev_i32_e32 v10, 31, v9
	v_lshlrev_b64 v[14:15], 3, v[7:8]
	s_delay_alu instid0(VALU_DEP_2) | instskip(SKIP_1) | instid1(VALU_DEP_1)
	v_lshlrev_b64 v[9:10], 2, v[9:10]
	s_waitcnt lgkmcnt(0)
	v_add_co_u32 v9, vcc_lo, s4, v9
	s_delay_alu instid0(VALU_DEP_2) | instskip(NEXT) | instid1(VALU_DEP_4)
	v_add_co_ci_u32_e32 v10, vcc_lo, s5, v10, vcc_lo
	v_add_co_u32 v14, vcc_lo, s6, v14
	v_add_co_ci_u32_e32 v15, vcc_lo, s7, v15, vcc_lo
	global_load_b32 v9, v[9:10], off
	s_waitcnt vmcnt(0)
	v_subrev_nc_u32_e32 v9, s10, v9
	s_delay_alu instid0(VALU_DEP_1) | instskip(NEXT) | instid1(VALU_DEP_1)
	v_lshl_or_b32 v9, v9, 2, v12
	v_ashrrev_i32_e32 v10, 31, v9
	s_delay_alu instid0(VALU_DEP_1) | instskip(NEXT) | instid1(VALU_DEP_1)
	v_lshlrev_b64 v[9:10], 3, v[9:10]
	v_add_co_u32 v9, vcc_lo, s0, v9
	s_delay_alu instid0(VALU_DEP_2)
	v_add_co_ci_u32_e32 v10, vcc_lo, s1, v10, vcc_lo
	global_load_b64 v[14:15], v[14:15], off
	global_load_b64 v[9:10], v[9:10], off
	s_waitcnt vmcnt(0)
	v_fma_f64 v[5:6], v[14:15], v[9:10], v[5:6]
	s_branch .LBB47_9
.LBB47_12:
	s_set_inst_prefetch_distance 0x2
	v_lshlrev_b32_e32 v9, 3, v0
	s_and_b32 vcc_lo, exec_lo, s11
	ds_store_b64 v9, v[5:6]
	s_waitcnt lgkmcnt(0)
	s_barrier
	buffer_gl0_inv
	s_cbranch_vccz .LBB47_20
; %bb.13:
	s_mov_b32 s0, exec_lo
	v_cmpx_gt_u32_e32 2, v11
	s_cbranch_execz .LBB47_15
; %bb.14:
	ds_load_2addr_b64 v[12:15], v9 offset1:2
	s_waitcnt lgkmcnt(0)
	v_add_f64 v[7:8], v[14:15], v[12:13]
	ds_store_b64 v9, v[7:8]
.LBB47_15:
	s_or_b32 exec_lo, exec_lo, s0
	s_delay_alu instid0(SALU_CYCLE_1)
	s_mov_b32 s0, exec_lo
	s_waitcnt lgkmcnt(0)
	s_barrier
	buffer_gl0_inv
	v_cmpx_eq_u32_e32 0, v11
	s_cbranch_execz .LBB47_17
; %bb.16:
	ds_load_2addr_b64 v[10:13], v9 offset1:1
	s_waitcnt lgkmcnt(0)
	v_add_f64 v[7:8], v[12:13], v[10:11]
	ds_store_b64 v9, v[7:8]
.LBB47_17:
	s_or_b32 exec_lo, exec_lo, s0
	v_dual_mov_b32 v8, v6 :: v_dual_mov_b32 v7, v5
	s_mov_b32 s0, exec_lo
	s_waitcnt lgkmcnt(0)
	s_barrier
	buffer_gl0_inv
	v_cmpx_gt_u32_e32 14, v0
	s_cbranch_execz .LBB47_19
; %bb.18:
	v_mad_u32_u24 v7, v0, 24, v9
	ds_load_b64 v[7:8], v7
.LBB47_19:
	s_or_b32 exec_lo, exec_lo, s0
	s_branch .LBB47_28
.LBB47_20:
                                        ; implicit-def: $vgpr7_vgpr8
	s_cbranch_execz .LBB47_28
; %bb.21:
	s_mov_b32 s0, exec_lo
	v_cmpx_gt_u32_e32 28, v0
	s_cbranch_execz .LBB47_23
; %bb.22:
	ds_load_2addr_b64 v[10:13], v9 offset1:28
	s_waitcnt lgkmcnt(0)
	v_add_f64 v[7:8], v[12:13], v[10:11]
	ds_store_b64 v9, v[7:8]
.LBB47_23:
	s_or_b32 exec_lo, exec_lo, s0
	s_delay_alu instid0(SALU_CYCLE_1)
	s_mov_b32 s0, exec_lo
	s_waitcnt lgkmcnt(0)
	buffer_gl0_inv
	v_cmpx_lt_u32_e32 13, v0
	s_xor_b32 s0, exec_lo, s0
	s_cbranch_execz .LBB47_25
; %bb.24:
	buffer_gl0_inv
                                        ; implicit-def: $vgpr9
.LBB47_25:
	s_and_not1_saveexec_b32 s0, s0
	s_cbranch_execz .LBB47_27
; %bb.26:
	ds_load_2addr_b64 v[5:8], v9 offset1:14
	s_waitcnt lgkmcnt(0)
	v_add_f64 v[5:6], v[7:8], v[5:6]
	ds_store_b64 v9, v[5:6]
	s_waitcnt lgkmcnt(0)
	buffer_gl0_inv
	ds_load_b64 v[5:6], v9
.LBB47_27:
	s_or_b32 exec_lo, exec_lo, s0
	s_waitcnt lgkmcnt(0)
	v_dual_mov_b32 v8, v6 :: v_dual_mov_b32 v7, v5
.LBB47_28:
	v_cmp_gt_u32_e32 vcc_lo, 14, v0
	s_and_b32 exec_lo, exec_lo, vcc_lo
	s_cbranch_execz .LBB47_33
; %bb.29:
	s_waitcnt lgkmcnt(0)
	v_mul_f64 v[3:4], v[3:4], v[7:8]
	s_mov_b32 s0, exec_lo
	v_cmpx_eq_f64_e32 0, v[1:2]
	s_xor_b32 s0, exec_lo, s0
	s_cbranch_execz .LBB47_31
; %bb.30:
	v_mad_u64_u32 v[1:2], null, s8, 14, v[0:1]
	v_mov_b32_e32 v2, 0
	s_delay_alu instid0(VALU_DEP_1) | instskip(NEXT) | instid1(VALU_DEP_1)
	v_lshlrev_b64 v[0:1], 3, v[1:2]
	v_add_co_u32 v0, vcc_lo, s2, v0
	s_delay_alu instid0(VALU_DEP_2)
	v_add_co_ci_u32_e32 v1, vcc_lo, s3, v1, vcc_lo
	global_store_b64 v[0:1], v[3:4], off
                                        ; implicit-def: $vgpr0
                                        ; implicit-def: $vgpr1_vgpr2
                                        ; implicit-def: $vgpr3_vgpr4
.LBB47_31:
	s_and_not1_saveexec_b32 s0, s0
	s_cbranch_execz .LBB47_33
; %bb.32:
	v_mad_u64_u32 v[5:6], null, s8, 14, v[0:1]
	v_mov_b32_e32 v6, 0
	s_delay_alu instid0(VALU_DEP_1) | instskip(NEXT) | instid1(VALU_DEP_1)
	v_lshlrev_b64 v[5:6], 3, v[5:6]
	v_add_co_u32 v5, vcc_lo, s2, v5
	s_delay_alu instid0(VALU_DEP_2)
	v_add_co_ci_u32_e32 v6, vcc_lo, s3, v6, vcc_lo
	global_load_b64 v[7:8], v[5:6], off
	s_waitcnt vmcnt(0)
	v_fma_f64 v[0:1], v[1:2], v[7:8], v[3:4]
	global_store_b64 v[5:6], v[0:1], off
.LBB47_33:
	s_nop 0
	s_sendmsg sendmsg(MSG_DEALLOC_VGPRS)
	s_endpgm
	.section	.rodata,"a",@progbits
	.p2align	6, 0x0
	.amdhsa_kernel _ZN9rocsparseL22gebsrmvn_mxn_16_kernelILj56ELj14ELj4EdEEvi20rocsparse_direction_NS_24const_host_device_scalarIT2_EEPKiS6_PKS3_iiS8_S4_PS3_21rocsparse_index_base_b
		.amdhsa_group_segment_fixed_size 448
		.amdhsa_private_segment_fixed_size 0
		.amdhsa_kernarg_size 80
		.amdhsa_user_sgpr_count 15
		.amdhsa_user_sgpr_dispatch_ptr 0
		.amdhsa_user_sgpr_queue_ptr 0
		.amdhsa_user_sgpr_kernarg_segment_ptr 1
		.amdhsa_user_sgpr_dispatch_id 0
		.amdhsa_user_sgpr_private_segment_size 0
		.amdhsa_wavefront_size32 1
		.amdhsa_uses_dynamic_stack 0
		.amdhsa_enable_private_segment 0
		.amdhsa_system_sgpr_workgroup_id_x 1
		.amdhsa_system_sgpr_workgroup_id_y 0
		.amdhsa_system_sgpr_workgroup_id_z 0
		.amdhsa_system_sgpr_workgroup_info 0
		.amdhsa_system_vgpr_workitem_id 0
		.amdhsa_next_free_vgpr 16
		.amdhsa_next_free_sgpr 16
		.amdhsa_reserve_vcc 1
		.amdhsa_float_round_mode_32 0
		.amdhsa_float_round_mode_16_64 0
		.amdhsa_float_denorm_mode_32 3
		.amdhsa_float_denorm_mode_16_64 3
		.amdhsa_dx10_clamp 1
		.amdhsa_ieee_mode 1
		.amdhsa_fp16_overflow 0
		.amdhsa_workgroup_processor_mode 1
		.amdhsa_memory_ordered 1
		.amdhsa_forward_progress 0
		.amdhsa_shared_vgpr_count 0
		.amdhsa_exception_fp_ieee_invalid_op 0
		.amdhsa_exception_fp_denorm_src 0
		.amdhsa_exception_fp_ieee_div_zero 0
		.amdhsa_exception_fp_ieee_overflow 0
		.amdhsa_exception_fp_ieee_underflow 0
		.amdhsa_exception_fp_ieee_inexact 0
		.amdhsa_exception_int_div_zero 0
	.end_amdhsa_kernel
	.section	.text._ZN9rocsparseL22gebsrmvn_mxn_16_kernelILj56ELj14ELj4EdEEvi20rocsparse_direction_NS_24const_host_device_scalarIT2_EEPKiS6_PKS3_iiS8_S4_PS3_21rocsparse_index_base_b,"axG",@progbits,_ZN9rocsparseL22gebsrmvn_mxn_16_kernelILj56ELj14ELj4EdEEvi20rocsparse_direction_NS_24const_host_device_scalarIT2_EEPKiS6_PKS3_iiS8_S4_PS3_21rocsparse_index_base_b,comdat
.Lfunc_end47:
	.size	_ZN9rocsparseL22gebsrmvn_mxn_16_kernelILj56ELj14ELj4EdEEvi20rocsparse_direction_NS_24const_host_device_scalarIT2_EEPKiS6_PKS3_iiS8_S4_PS3_21rocsparse_index_base_b, .Lfunc_end47-_ZN9rocsparseL22gebsrmvn_mxn_16_kernelILj56ELj14ELj4EdEEvi20rocsparse_direction_NS_24const_host_device_scalarIT2_EEPKiS6_PKS3_iiS8_S4_PS3_21rocsparse_index_base_b
                                        ; -- End function
	.section	.AMDGPU.csdata,"",@progbits
; Kernel info:
; codeLenInByte = 1092
; NumSgprs: 18
; NumVgprs: 16
; ScratchSize: 0
; MemoryBound: 0
; FloatMode: 240
; IeeeMode: 1
; LDSByteSize: 448 bytes/workgroup (compile time only)
; SGPRBlocks: 2
; VGPRBlocks: 1
; NumSGPRsForWavesPerEU: 18
; NumVGPRsForWavesPerEU: 16
; Occupancy: 16
; WaveLimiterHint : 1
; COMPUTE_PGM_RSRC2:SCRATCH_EN: 0
; COMPUTE_PGM_RSRC2:USER_SGPR: 15
; COMPUTE_PGM_RSRC2:TRAP_HANDLER: 0
; COMPUTE_PGM_RSRC2:TGID_X_EN: 1
; COMPUTE_PGM_RSRC2:TGID_Y_EN: 0
; COMPUTE_PGM_RSRC2:TGID_Z_EN: 0
; COMPUTE_PGM_RSRC2:TIDIG_COMP_CNT: 0
	.section	.text._ZN9rocsparseL22gebsrmvn_mxn_16_kernelILj70ELj14ELj5EdEEvi20rocsparse_direction_NS_24const_host_device_scalarIT2_EEPKiS6_PKS3_iiS8_S4_PS3_21rocsparse_index_base_b,"axG",@progbits,_ZN9rocsparseL22gebsrmvn_mxn_16_kernelILj70ELj14ELj5EdEEvi20rocsparse_direction_NS_24const_host_device_scalarIT2_EEPKiS6_PKS3_iiS8_S4_PS3_21rocsparse_index_base_b,comdat
	.globl	_ZN9rocsparseL22gebsrmvn_mxn_16_kernelILj70ELj14ELj5EdEEvi20rocsparse_direction_NS_24const_host_device_scalarIT2_EEPKiS6_PKS3_iiS8_S4_PS3_21rocsparse_index_base_b ; -- Begin function _ZN9rocsparseL22gebsrmvn_mxn_16_kernelILj70ELj14ELj5EdEEvi20rocsparse_direction_NS_24const_host_device_scalarIT2_EEPKiS6_PKS3_iiS8_S4_PS3_21rocsparse_index_base_b
	.p2align	8
	.type	_ZN9rocsparseL22gebsrmvn_mxn_16_kernelILj70ELj14ELj5EdEEvi20rocsparse_direction_NS_24const_host_device_scalarIT2_EEPKiS6_PKS3_iiS8_S4_PS3_21rocsparse_index_base_b,@function
_ZN9rocsparseL22gebsrmvn_mxn_16_kernelILj70ELj14ELj5EdEEvi20rocsparse_direction_NS_24const_host_device_scalarIT2_EEPKiS6_PKS3_iiS8_S4_PS3_21rocsparse_index_base_b: ; @_ZN9rocsparseL22gebsrmvn_mxn_16_kernelILj70ELj14ELj5EdEEvi20rocsparse_direction_NS_24const_host_device_scalarIT2_EEPKiS6_PKS3_iiS8_S4_PS3_21rocsparse_index_base_b
; %bb.0:
	s_clause 0x2
	s_load_b64 s[10:11], s[0:1], 0x48
	s_load_b64 s[4:5], s[0:1], 0x8
	;; [unrolled: 1-line block ×3, first 2 shown]
	s_mov_b32 s8, s15
	s_waitcnt lgkmcnt(0)
	s_bitcmp1_b32 s11, 0
	v_dual_mov_b32 v3, s4 :: v_dual_mov_b32 v4, s5
	s_cselect_b32 s6, -1, 0
	s_delay_alu instid0(SALU_CYCLE_1)
	s_and_b32 vcc_lo, exec_lo, s6
	s_xor_b32 s6, s6, -1
	s_cbranch_vccnz .LBB48_2
; %bb.1:
	v_dual_mov_b32 v1, s4 :: v_dual_mov_b32 v2, s5
	flat_load_b64 v[3:4], v[1:2]
.LBB48_2:
	v_dual_mov_b32 v1, s2 :: v_dual_mov_b32 v2, s3
	s_and_not1_b32 vcc_lo, exec_lo, s6
	s_cbranch_vccnz .LBB48_4
; %bb.3:
	v_dual_mov_b32 v1, s2 :: v_dual_mov_b32 v2, s3
	flat_load_b64 v[1:2], v[1:2]
.LBB48_4:
	s_waitcnt vmcnt(0) lgkmcnt(0)
	v_cmp_neq_f64_e32 vcc_lo, 0, v[3:4]
	v_cmp_neq_f64_e64 s2, 1.0, v[1:2]
	s_delay_alu instid0(VALU_DEP_1) | instskip(NEXT) | instid1(SALU_CYCLE_1)
	s_or_b32 s2, vcc_lo, s2
	s_and_saveexec_b32 s3, s2
	s_cbranch_execz .LBB48_37
; %bb.5:
	v_mul_u32_u24_e32 v5, 0x3334, v0
	s_clause 0x1
	s_load_b32 s4, s[0:1], 0x4
	s_load_b64 s[2:3], s[0:1], 0x10
	s_delay_alu instid0(VALU_DEP_1) | instskip(NEXT) | instid1(VALU_DEP_1)
	v_lshrrev_b32_e32 v5, 16, v5
	v_mul_lo_u16 v5, v5, 5
	s_delay_alu instid0(VALU_DEP_1) | instskip(NEXT) | instid1(VALU_DEP_1)
	v_sub_nc_u16 v5, v0, v5
	v_and_b32_e32 v12, 0xffff, v5
	s_waitcnt lgkmcnt(0)
	s_cmp_lg_u32 s4, 1
	v_and_b32_e32 v8, 0xffff, v0
	s_cselect_b32 s11, -1, 0
	v_mov_b32_e32 v7, v12
	s_and_b32 vcc_lo, exec_lo, s11
	s_cbranch_vccnz .LBB48_7
; %bb.6:
	v_mul_u32_u24_e32 v5, 0x124a, v8
	s_delay_alu instid0(VALU_DEP_1) | instskip(NEXT) | instid1(VALU_DEP_1)
	v_lshrrev_b32_e32 v5, 16, v5
	v_mul_lo_u16 v6, v5, 52
	s_delay_alu instid0(VALU_DEP_1) | instskip(NEXT) | instid1(VALU_DEP_1)
	v_lshrrev_b16 v6, 8, v6
	v_mul_lo_u16 v6, v6, 5
	s_delay_alu instid0(VALU_DEP_1) | instskip(NEXT) | instid1(VALU_DEP_1)
	v_sub_nc_u16 v5, v5, v6
	v_and_b32_e32 v7, 0xff, v5
.LBB48_7:
	s_ashr_i32 s9, s8, 31
	v_mov_b32_e32 v5, 0
	s_lshl_b64 s[4:5], s[8:9], 2
	v_mov_b32_e32 v6, 0
	s_add_u32 s2, s2, s4
	s_addc_u32 s3, s3, s5
	s_load_b64 s[12:13], s[2:3], 0x0
	s_load_b64 s[2:3], s[0:1], 0x40
	s_waitcnt lgkmcnt(0)
	s_cmp_ge_i32 s12, s13
	s_cbranch_scc1 .LBB48_12
; %bb.8:
	s_clause 0x1
	s_load_b128 s[4:7], s[0:1], 0x18
	s_load_b64 s[0:1], s[0:1], 0x30
	v_mad_u64_u32 v[5:6], null, 0x46, s12, v[0:1]
	v_mul_u32_u24_e32 v6, 0x3a9, v8
	s_mul_i32 s9, s10, 0x46
	s_sub_i32 s12, s12, s10
	v_mov_b32_e32 v9, 0
	s_delay_alu instid0(VALU_DEP_2) | instskip(NEXT) | instid1(VALU_DEP_4)
	v_lshrrev_b32_e32 v13, 16, v6
	v_subrev_nc_u32_e32 v8, s9, v5
	v_mov_b32_e32 v5, 0
	v_mov_b32_e32 v6, 0
	s_sub_i32 s9, s13, s10
	s_set_inst_prefetch_distance 0x1
	s_branch .LBB48_10
	.p2align	6
.LBB48_9:                               ;   in Loop: Header=BB48_10 Depth=1
	s_or_b32 exec_lo, exec_lo, s13
	v_add_nc_u32_e32 v8, 0x46, v8
	s_add_i32 s12, s12, 1
	s_delay_alu instid0(SALU_CYCLE_1)
	s_cmp_ge_i32 s12, s9
	s_cbranch_scc1 .LBB48_12
.LBB48_10:                              ; =>This Inner Loop Header: Depth=1
	v_add_nc_u32_e32 v10, s12, v13
	s_mov_b32 s13, exec_lo
	s_delay_alu instid0(VALU_DEP_1)
	v_cmpx_gt_i32_e64 s9, v10
	s_cbranch_execz .LBB48_9
; %bb.11:                               ;   in Loop: Header=BB48_10 Depth=1
	v_ashrrev_i32_e32 v11, 31, v10
	s_delay_alu instid0(VALU_DEP_1) | instskip(SKIP_1) | instid1(VALU_DEP_1)
	v_lshlrev_b64 v[10:11], 2, v[10:11]
	s_waitcnt lgkmcnt(0)
	v_add_co_u32 v10, vcc_lo, s4, v10
	s_delay_alu instid0(VALU_DEP_2) | instskip(SKIP_3) | instid1(VALU_DEP_1)
	v_add_co_ci_u32_e32 v11, vcc_lo, s5, v11, vcc_lo
	global_load_b32 v10, v[10:11], off
	s_waitcnt vmcnt(0)
	v_subrev_nc_u32_e32 v14, s10, v10
	v_mad_u64_u32 v[10:11], null, v14, 5, v[7:8]
	v_lshlrev_b64 v[14:15], 3, v[8:9]
	s_delay_alu instid0(VALU_DEP_1) | instskip(NEXT) | instid1(VALU_DEP_3)
	v_add_co_u32 v14, vcc_lo, s6, v14
	v_ashrrev_i32_e32 v11, 31, v10
	s_delay_alu instid0(VALU_DEP_3) | instskip(NEXT) | instid1(VALU_DEP_2)
	v_add_co_ci_u32_e32 v15, vcc_lo, s7, v15, vcc_lo
	v_lshlrev_b64 v[10:11], 3, v[10:11]
	s_delay_alu instid0(VALU_DEP_1) | instskip(NEXT) | instid1(VALU_DEP_2)
	v_add_co_u32 v10, vcc_lo, s0, v10
	v_add_co_ci_u32_e32 v11, vcc_lo, s1, v11, vcc_lo
	global_load_b64 v[14:15], v[14:15], off
	global_load_b64 v[10:11], v[10:11], off
	s_waitcnt vmcnt(0)
	v_fma_f64 v[5:6], v[14:15], v[10:11], v[5:6]
	s_branch .LBB48_9
.LBB48_12:
	s_set_inst_prefetch_distance 0x2
	v_lshlrev_b32_e32 v9, 3, v0
	s_and_b32 vcc_lo, exec_lo, s11
	ds_store_b64 v9, v[5:6]
	s_waitcnt lgkmcnt(0)
	s_barrier
	buffer_gl0_inv
	s_cbranch_vccz .LBB48_22
; %bb.13:
	v_cmp_eq_u16_e32 vcc_lo, 0, v12
	s_and_saveexec_b32 s0, vcc_lo
	s_cbranch_execz .LBB48_15
; %bb.14:
	ds_load_2addr_b64 v[13:16], v9 offset1:4
	s_waitcnt lgkmcnt(0)
	v_add_f64 v[7:8], v[15:16], v[13:14]
	ds_store_b64 v9, v[7:8]
.LBB48_15:
	s_or_b32 exec_lo, exec_lo, s0
	s_delay_alu instid0(SALU_CYCLE_1)
	s_mov_b32 s1, exec_lo
	s_waitcnt lgkmcnt(0)
	s_barrier
	buffer_gl0_inv
	v_cmpx_gt_u16_e32 2, v12
	s_cbranch_execz .LBB48_17
; %bb.16:
	ds_load_2addr_b64 v[10:13], v9 offset1:2
	s_waitcnt lgkmcnt(0)
	v_add_f64 v[7:8], v[12:13], v[10:11]
	ds_store_b64 v9, v[7:8]
.LBB48_17:
	s_or_b32 exec_lo, exec_lo, s1
	s_waitcnt lgkmcnt(0)
	s_barrier
	buffer_gl0_inv
	s_and_saveexec_b32 s0, vcc_lo
	s_cbranch_execz .LBB48_19
; %bb.18:
	ds_load_2addr_b64 v[10:13], v9 offset1:1
	s_waitcnt lgkmcnt(0)
	v_add_f64 v[7:8], v[12:13], v[10:11]
	ds_store_b64 v9, v[7:8]
.LBB48_19:
	s_or_b32 exec_lo, exec_lo, s0
	v_dual_mov_b32 v8, v6 :: v_dual_mov_b32 v7, v5
	s_mov_b32 s0, exec_lo
	s_waitcnt lgkmcnt(0)
	s_barrier
	buffer_gl0_inv
	v_cmpx_gt_u32_e32 14, v0
	s_cbranch_execz .LBB48_21
; %bb.20:
	v_lshl_add_u32 v7, v0, 5, v9
	ds_load_b64 v[7:8], v7
.LBB48_21:
	s_or_b32 exec_lo, exec_lo, s0
	v_cmp_gt_u32_e64 s0, 14, v0
	s_branch .LBB48_32
.LBB48_22:
                                        ; implicit-def: $vgpr7_vgpr8
	v_cmp_gt_u32_e64 s0, 14, v0
	s_cbranch_execz .LBB48_32
; %bb.23:
	v_cmp_lt_u32_e32 vcc_lo, 13, v0
	s_delay_alu instid0(VALU_DEP_2)
	s_and_saveexec_b32 s1, s0
	s_cbranch_execz .LBB48_25
; %bb.24:
	ds_load_2addr_b64 v[10:13], v9 offset1:56
	s_waitcnt lgkmcnt(0)
	v_add_f64 v[7:8], v[12:13], v[10:11]
	ds_store_b64 v9, v[7:8]
.LBB48_25:
	s_or_b32 exec_lo, exec_lo, s1
	s_delay_alu instid0(SALU_CYCLE_1)
	s_mov_b32 s1, exec_lo
	s_waitcnt lgkmcnt(0)
	s_barrier
	buffer_gl0_inv
	v_cmpx_gt_u32_e32 28, v0
	s_cbranch_execz .LBB48_27
; %bb.26:
	ds_load_2addr_b64 v[10:13], v9 offset1:28
	s_waitcnt lgkmcnt(0)
	v_add_f64 v[7:8], v[12:13], v[10:11]
	ds_store_b64 v9, v[7:8]
.LBB48_27:
	s_or_b32 exec_lo, exec_lo, s1
	s_waitcnt lgkmcnt(0)
	buffer_gl0_inv
	s_and_saveexec_b32 s0, vcc_lo
	s_delay_alu instid0(SALU_CYCLE_1)
	s_xor_b32 s0, exec_lo, s0
	s_cbranch_execz .LBB48_29
; %bb.28:
	buffer_gl0_inv
                                        ; implicit-def: $vgpr9
.LBB48_29:
	s_and_not1_saveexec_b32 s0, s0
	s_cbranch_execz .LBB48_31
; %bb.30:
	ds_load_2addr_b64 v[5:8], v9 offset1:14
	s_waitcnt lgkmcnt(0)
	v_add_f64 v[5:6], v[7:8], v[5:6]
	ds_store_b64 v9, v[5:6]
	s_waitcnt lgkmcnt(0)
	buffer_gl0_inv
	ds_load_b64 v[5:6], v9
.LBB48_31:
	s_or_b32 exec_lo, exec_lo, s0
	s_waitcnt lgkmcnt(0)
	v_dual_mov_b32 v8, v6 :: v_dual_mov_b32 v7, v5
.LBB48_32:
	v_cmp_gt_u32_e32 vcc_lo, 14, v0
	s_and_b32 exec_lo, exec_lo, vcc_lo
	s_cbranch_execz .LBB48_37
; %bb.33:
	s_waitcnt lgkmcnt(0)
	v_mul_f64 v[3:4], v[3:4], v[7:8]
	s_mov_b32 s0, exec_lo
	v_cmpx_eq_f64_e32 0, v[1:2]
	s_xor_b32 s0, exec_lo, s0
	s_cbranch_execz .LBB48_35
; %bb.34:
	v_mad_u64_u32 v[1:2], null, s8, 14, v[0:1]
	v_mov_b32_e32 v2, 0
	s_delay_alu instid0(VALU_DEP_1) | instskip(NEXT) | instid1(VALU_DEP_1)
	v_lshlrev_b64 v[0:1], 3, v[1:2]
	v_add_co_u32 v0, vcc_lo, s2, v0
	s_delay_alu instid0(VALU_DEP_2)
	v_add_co_ci_u32_e32 v1, vcc_lo, s3, v1, vcc_lo
	global_store_b64 v[0:1], v[3:4], off
                                        ; implicit-def: $vgpr0
                                        ; implicit-def: $vgpr1_vgpr2
                                        ; implicit-def: $vgpr3_vgpr4
.LBB48_35:
	s_and_not1_saveexec_b32 s0, s0
	s_cbranch_execz .LBB48_37
; %bb.36:
	v_mad_u64_u32 v[5:6], null, s8, 14, v[0:1]
	v_mov_b32_e32 v6, 0
	s_delay_alu instid0(VALU_DEP_1) | instskip(NEXT) | instid1(VALU_DEP_1)
	v_lshlrev_b64 v[5:6], 3, v[5:6]
	v_add_co_u32 v5, vcc_lo, s2, v5
	s_delay_alu instid0(VALU_DEP_2)
	v_add_co_ci_u32_e32 v6, vcc_lo, s3, v6, vcc_lo
	global_load_b64 v[7:8], v[5:6], off
	s_waitcnt vmcnt(0)
	v_fma_f64 v[0:1], v[1:2], v[7:8], v[3:4]
	global_store_b64 v[5:6], v[0:1], off
.LBB48_37:
	s_nop 0
	s_sendmsg sendmsg(MSG_DEALLOC_VGPRS)
	s_endpgm
	.section	.rodata,"a",@progbits
	.p2align	6, 0x0
	.amdhsa_kernel _ZN9rocsparseL22gebsrmvn_mxn_16_kernelILj70ELj14ELj5EdEEvi20rocsparse_direction_NS_24const_host_device_scalarIT2_EEPKiS6_PKS3_iiS8_S4_PS3_21rocsparse_index_base_b
		.amdhsa_group_segment_fixed_size 560
		.amdhsa_private_segment_fixed_size 0
		.amdhsa_kernarg_size 80
		.amdhsa_user_sgpr_count 15
		.amdhsa_user_sgpr_dispatch_ptr 0
		.amdhsa_user_sgpr_queue_ptr 0
		.amdhsa_user_sgpr_kernarg_segment_ptr 1
		.amdhsa_user_sgpr_dispatch_id 0
		.amdhsa_user_sgpr_private_segment_size 0
		.amdhsa_wavefront_size32 1
		.amdhsa_uses_dynamic_stack 0
		.amdhsa_enable_private_segment 0
		.amdhsa_system_sgpr_workgroup_id_x 1
		.amdhsa_system_sgpr_workgroup_id_y 0
		.amdhsa_system_sgpr_workgroup_id_z 0
		.amdhsa_system_sgpr_workgroup_info 0
		.amdhsa_system_vgpr_workitem_id 0
		.amdhsa_next_free_vgpr 17
		.amdhsa_next_free_sgpr 16
		.amdhsa_reserve_vcc 1
		.amdhsa_float_round_mode_32 0
		.amdhsa_float_round_mode_16_64 0
		.amdhsa_float_denorm_mode_32 3
		.amdhsa_float_denorm_mode_16_64 3
		.amdhsa_dx10_clamp 1
		.amdhsa_ieee_mode 1
		.amdhsa_fp16_overflow 0
		.amdhsa_workgroup_processor_mode 1
		.amdhsa_memory_ordered 1
		.amdhsa_forward_progress 0
		.amdhsa_shared_vgpr_count 0
		.amdhsa_exception_fp_ieee_invalid_op 0
		.amdhsa_exception_fp_denorm_src 0
		.amdhsa_exception_fp_ieee_div_zero 0
		.amdhsa_exception_fp_ieee_overflow 0
		.amdhsa_exception_fp_ieee_underflow 0
		.amdhsa_exception_fp_ieee_inexact 0
		.amdhsa_exception_int_div_zero 0
	.end_amdhsa_kernel
	.section	.text._ZN9rocsparseL22gebsrmvn_mxn_16_kernelILj70ELj14ELj5EdEEvi20rocsparse_direction_NS_24const_host_device_scalarIT2_EEPKiS6_PKS3_iiS8_S4_PS3_21rocsparse_index_base_b,"axG",@progbits,_ZN9rocsparseL22gebsrmvn_mxn_16_kernelILj70ELj14ELj5EdEEvi20rocsparse_direction_NS_24const_host_device_scalarIT2_EEPKiS6_PKS3_iiS8_S4_PS3_21rocsparse_index_base_b,comdat
.Lfunc_end48:
	.size	_ZN9rocsparseL22gebsrmvn_mxn_16_kernelILj70ELj14ELj5EdEEvi20rocsparse_direction_NS_24const_host_device_scalarIT2_EEPKiS6_PKS3_iiS8_S4_PS3_21rocsparse_index_base_b, .Lfunc_end48-_ZN9rocsparseL22gebsrmvn_mxn_16_kernelILj70ELj14ELj5EdEEvi20rocsparse_direction_NS_24const_host_device_scalarIT2_EEPKiS6_PKS3_iiS8_S4_PS3_21rocsparse_index_base_b
                                        ; -- End function
	.section	.AMDGPU.csdata,"",@progbits
; Kernel info:
; codeLenInByte = 1328
; NumSgprs: 18
; NumVgprs: 17
; ScratchSize: 0
; MemoryBound: 0
; FloatMode: 240
; IeeeMode: 1
; LDSByteSize: 560 bytes/workgroup (compile time only)
; SGPRBlocks: 2
; VGPRBlocks: 2
; NumSGPRsForWavesPerEU: 18
; NumVGPRsForWavesPerEU: 17
; Occupancy: 16
; WaveLimiterHint : 1
; COMPUTE_PGM_RSRC2:SCRATCH_EN: 0
; COMPUTE_PGM_RSRC2:USER_SGPR: 15
; COMPUTE_PGM_RSRC2:TRAP_HANDLER: 0
; COMPUTE_PGM_RSRC2:TGID_X_EN: 1
; COMPUTE_PGM_RSRC2:TGID_Y_EN: 0
; COMPUTE_PGM_RSRC2:TGID_Z_EN: 0
; COMPUTE_PGM_RSRC2:TIDIG_COMP_CNT: 0
	.section	.text._ZN9rocsparseL22gebsrmvn_mxn_16_kernelILj84ELj14ELj6EdEEvi20rocsparse_direction_NS_24const_host_device_scalarIT2_EEPKiS6_PKS3_iiS8_S4_PS3_21rocsparse_index_base_b,"axG",@progbits,_ZN9rocsparseL22gebsrmvn_mxn_16_kernelILj84ELj14ELj6EdEEvi20rocsparse_direction_NS_24const_host_device_scalarIT2_EEPKiS6_PKS3_iiS8_S4_PS3_21rocsparse_index_base_b,comdat
	.globl	_ZN9rocsparseL22gebsrmvn_mxn_16_kernelILj84ELj14ELj6EdEEvi20rocsparse_direction_NS_24const_host_device_scalarIT2_EEPKiS6_PKS3_iiS8_S4_PS3_21rocsparse_index_base_b ; -- Begin function _ZN9rocsparseL22gebsrmvn_mxn_16_kernelILj84ELj14ELj6EdEEvi20rocsparse_direction_NS_24const_host_device_scalarIT2_EEPKiS6_PKS3_iiS8_S4_PS3_21rocsparse_index_base_b
	.p2align	8
	.type	_ZN9rocsparseL22gebsrmvn_mxn_16_kernelILj84ELj14ELj6EdEEvi20rocsparse_direction_NS_24const_host_device_scalarIT2_EEPKiS6_PKS3_iiS8_S4_PS3_21rocsparse_index_base_b,@function
_ZN9rocsparseL22gebsrmvn_mxn_16_kernelILj84ELj14ELj6EdEEvi20rocsparse_direction_NS_24const_host_device_scalarIT2_EEPKiS6_PKS3_iiS8_S4_PS3_21rocsparse_index_base_b: ; @_ZN9rocsparseL22gebsrmvn_mxn_16_kernelILj84ELj14ELj6EdEEvi20rocsparse_direction_NS_24const_host_device_scalarIT2_EEPKiS6_PKS3_iiS8_S4_PS3_21rocsparse_index_base_b
; %bb.0:
	s_clause 0x2
	s_load_b64 s[10:11], s[0:1], 0x48
	s_load_b64 s[4:5], s[0:1], 0x8
	;; [unrolled: 1-line block ×3, first 2 shown]
	s_mov_b32 s8, s15
	s_waitcnt lgkmcnt(0)
	s_bitcmp1_b32 s11, 0
	v_dual_mov_b32 v3, s4 :: v_dual_mov_b32 v4, s5
	s_cselect_b32 s6, -1, 0
	s_delay_alu instid0(SALU_CYCLE_1)
	s_and_b32 vcc_lo, exec_lo, s6
	s_xor_b32 s6, s6, -1
	s_cbranch_vccnz .LBB49_2
; %bb.1:
	v_dual_mov_b32 v1, s4 :: v_dual_mov_b32 v2, s5
	flat_load_b64 v[3:4], v[1:2]
.LBB49_2:
	v_dual_mov_b32 v1, s2 :: v_dual_mov_b32 v2, s3
	s_and_not1_b32 vcc_lo, exec_lo, s6
	s_cbranch_vccnz .LBB49_4
; %bb.3:
	v_dual_mov_b32 v1, s2 :: v_dual_mov_b32 v2, s3
	flat_load_b64 v[1:2], v[1:2]
.LBB49_4:
	s_waitcnt vmcnt(0) lgkmcnt(0)
	v_cmp_neq_f64_e32 vcc_lo, 0, v[3:4]
	v_cmp_neq_f64_e64 s2, 1.0, v[1:2]
	s_delay_alu instid0(VALU_DEP_1) | instskip(NEXT) | instid1(SALU_CYCLE_1)
	s_or_b32 s2, vcc_lo, s2
	s_and_saveexec_b32 s3, s2
	s_cbranch_execz .LBB49_37
; %bb.5:
	v_mul_u32_u24_e32 v5, 0x2aab, v0
	s_clause 0x1
	s_load_b32 s4, s[0:1], 0x4
	s_load_b64 s[2:3], s[0:1], 0x10
	s_delay_alu instid0(VALU_DEP_1) | instskip(NEXT) | instid1(VALU_DEP_1)
	v_lshrrev_b32_e32 v5, 16, v5
	v_mul_lo_u16 v5, v5, 6
	s_delay_alu instid0(VALU_DEP_1) | instskip(NEXT) | instid1(VALU_DEP_1)
	v_sub_nc_u16 v5, v0, v5
	v_and_b32_e32 v12, 0xffff, v5
	s_waitcnt lgkmcnt(0)
	s_cmp_lg_u32 s4, 1
	v_and_b32_e32 v8, 0xffff, v0
	s_cselect_b32 s11, -1, 0
	v_mov_b32_e32 v7, v12
	s_and_b32 vcc_lo, exec_lo, s11
	s_cbranch_vccnz .LBB49_7
; %bb.6:
	v_mul_u32_u24_e32 v5, 0x124a, v8
	s_delay_alu instid0(VALU_DEP_1) | instskip(NEXT) | instid1(VALU_DEP_1)
	v_lshrrev_b32_e32 v5, 16, v5
	v_mul_lo_u16 v6, v5, 43
	s_delay_alu instid0(VALU_DEP_1) | instskip(NEXT) | instid1(VALU_DEP_1)
	v_lshrrev_b16 v6, 8, v6
	v_mul_lo_u16 v6, v6, 6
	s_delay_alu instid0(VALU_DEP_1) | instskip(NEXT) | instid1(VALU_DEP_1)
	v_sub_nc_u16 v5, v5, v6
	v_and_b32_e32 v7, 0xff, v5
.LBB49_7:
	s_ashr_i32 s9, s8, 31
	v_mov_b32_e32 v5, 0
	s_lshl_b64 s[4:5], s[8:9], 2
	v_mov_b32_e32 v6, 0
	s_add_u32 s2, s2, s4
	s_addc_u32 s3, s3, s5
	s_load_b64 s[12:13], s[2:3], 0x0
	s_load_b64 s[2:3], s[0:1], 0x40
	s_waitcnt lgkmcnt(0)
	s_cmp_ge_i32 s12, s13
	s_cbranch_scc1 .LBB49_12
; %bb.8:
	s_clause 0x1
	s_load_b128 s[4:7], s[0:1], 0x18
	s_load_b64 s[0:1], s[0:1], 0x30
	v_mad_u64_u32 v[5:6], null, 0x54, s12, v[0:1]
	v_mul_u32_u24_e32 v6, 0x30d, v8
	s_mul_i32 s9, s10, 0x54
	s_sub_i32 s12, s12, s10
	v_mov_b32_e32 v9, 0
	s_delay_alu instid0(VALU_DEP_2) | instskip(NEXT) | instid1(VALU_DEP_4)
	v_lshrrev_b32_e32 v13, 16, v6
	v_subrev_nc_u32_e32 v8, s9, v5
	v_mov_b32_e32 v5, 0
	v_mov_b32_e32 v6, 0
	s_sub_i32 s9, s13, s10
	s_set_inst_prefetch_distance 0x1
	s_branch .LBB49_10
	.p2align	6
.LBB49_9:                               ;   in Loop: Header=BB49_10 Depth=1
	s_or_b32 exec_lo, exec_lo, s13
	v_add_nc_u32_e32 v8, 0x54, v8
	s_add_i32 s12, s12, 1
	s_delay_alu instid0(SALU_CYCLE_1)
	s_cmp_ge_i32 s12, s9
	s_cbranch_scc1 .LBB49_12
.LBB49_10:                              ; =>This Inner Loop Header: Depth=1
	v_add_nc_u32_e32 v10, s12, v13
	s_mov_b32 s13, exec_lo
	s_delay_alu instid0(VALU_DEP_1)
	v_cmpx_gt_i32_e64 s9, v10
	s_cbranch_execz .LBB49_9
; %bb.11:                               ;   in Loop: Header=BB49_10 Depth=1
	v_ashrrev_i32_e32 v11, 31, v10
	s_delay_alu instid0(VALU_DEP_1) | instskip(SKIP_1) | instid1(VALU_DEP_1)
	v_lshlrev_b64 v[10:11], 2, v[10:11]
	s_waitcnt lgkmcnt(0)
	v_add_co_u32 v10, vcc_lo, s4, v10
	s_delay_alu instid0(VALU_DEP_2) | instskip(SKIP_3) | instid1(VALU_DEP_1)
	v_add_co_ci_u32_e32 v11, vcc_lo, s5, v11, vcc_lo
	global_load_b32 v10, v[10:11], off
	s_waitcnt vmcnt(0)
	v_subrev_nc_u32_e32 v14, s10, v10
	v_mad_u64_u32 v[10:11], null, v14, 6, v[7:8]
	v_lshlrev_b64 v[14:15], 3, v[8:9]
	s_delay_alu instid0(VALU_DEP_1) | instskip(NEXT) | instid1(VALU_DEP_3)
	v_add_co_u32 v14, vcc_lo, s6, v14
	v_ashrrev_i32_e32 v11, 31, v10
	s_delay_alu instid0(VALU_DEP_3) | instskip(NEXT) | instid1(VALU_DEP_2)
	v_add_co_ci_u32_e32 v15, vcc_lo, s7, v15, vcc_lo
	v_lshlrev_b64 v[10:11], 3, v[10:11]
	s_delay_alu instid0(VALU_DEP_1) | instskip(NEXT) | instid1(VALU_DEP_2)
	v_add_co_u32 v10, vcc_lo, s0, v10
	v_add_co_ci_u32_e32 v11, vcc_lo, s1, v11, vcc_lo
	global_load_b64 v[14:15], v[14:15], off
	global_load_b64 v[10:11], v[10:11], off
	s_waitcnt vmcnt(0)
	v_fma_f64 v[5:6], v[14:15], v[10:11], v[5:6]
	s_branch .LBB49_9
.LBB49_12:
	s_set_inst_prefetch_distance 0x2
	v_lshlrev_b32_e32 v9, 3, v0
	s_and_b32 vcc_lo, exec_lo, s11
	ds_store_b64 v9, v[5:6]
	s_waitcnt lgkmcnt(0)
	s_barrier
	buffer_gl0_inv
	s_cbranch_vccz .LBB49_22
; %bb.13:
	v_cmp_gt_u16_e32 vcc_lo, 2, v12
	s_and_saveexec_b32 s0, vcc_lo
	s_cbranch_execz .LBB49_15
; %bb.14:
	ds_load_2addr_b64 v[13:16], v9 offset1:4
	s_waitcnt lgkmcnt(0)
	v_add_f64 v[7:8], v[15:16], v[13:14]
	ds_store_b64 v9, v[7:8]
.LBB49_15:
	s_or_b32 exec_lo, exec_lo, s0
	s_waitcnt lgkmcnt(0)
	s_barrier
	buffer_gl0_inv
	s_and_saveexec_b32 s0, vcc_lo
	s_cbranch_execz .LBB49_17
; %bb.16:
	ds_load_2addr_b64 v[13:16], v9 offset1:2
	s_waitcnt lgkmcnt(0)
	v_add_f64 v[7:8], v[15:16], v[13:14]
	ds_store_b64 v9, v[7:8]
.LBB49_17:
	s_or_b32 exec_lo, exec_lo, s0
	s_delay_alu instid0(SALU_CYCLE_1)
	s_mov_b32 s0, exec_lo
	s_waitcnt lgkmcnt(0)
	s_barrier
	buffer_gl0_inv
	v_cmpx_eq_u16_e32 0, v12
	s_cbranch_execz .LBB49_19
; %bb.18:
	ds_load_2addr_b64 v[10:13], v9 offset1:1
	s_waitcnt lgkmcnt(0)
	v_add_f64 v[7:8], v[12:13], v[10:11]
	ds_store_b64 v9, v[7:8]
.LBB49_19:
	s_or_b32 exec_lo, exec_lo, s0
	v_dual_mov_b32 v8, v6 :: v_dual_mov_b32 v7, v5
	s_mov_b32 s0, exec_lo
	s_waitcnt lgkmcnt(0)
	s_barrier
	buffer_gl0_inv
	v_cmpx_gt_u32_e32 14, v0
	s_cbranch_execz .LBB49_21
; %bb.20:
	v_mad_u32_u24 v7, v0, 40, v9
	ds_load_b64 v[7:8], v7
.LBB49_21:
	s_or_b32 exec_lo, exec_lo, s0
	s_branch .LBB49_32
.LBB49_22:
                                        ; implicit-def: $vgpr7_vgpr8
	s_cbranch_execz .LBB49_32
; %bb.23:
	v_cmp_gt_u32_e32 vcc_lo, 28, v0
	s_and_saveexec_b32 s0, vcc_lo
	s_cbranch_execz .LBB49_25
; %bb.24:
	ds_load_2addr_b64 v[10:13], v9 offset1:56
	s_waitcnt lgkmcnt(0)
	v_add_f64 v[7:8], v[12:13], v[10:11]
	ds_store_b64 v9, v[7:8]
.LBB49_25:
	s_or_b32 exec_lo, exec_lo, s0
	s_waitcnt lgkmcnt(0)
	s_barrier
	buffer_gl0_inv
	s_and_saveexec_b32 s0, vcc_lo
	s_cbranch_execz .LBB49_27
; %bb.26:
	ds_load_2addr_b64 v[10:13], v9 offset1:28
	s_waitcnt lgkmcnt(0)
	v_add_f64 v[7:8], v[12:13], v[10:11]
	ds_store_b64 v9, v[7:8]
.LBB49_27:
	s_or_b32 exec_lo, exec_lo, s0
	s_delay_alu instid0(SALU_CYCLE_1)
	s_mov_b32 s0, exec_lo
	s_waitcnt lgkmcnt(0)
	buffer_gl0_inv
	v_cmpx_lt_u32_e32 13, v0
	s_xor_b32 s0, exec_lo, s0
	s_cbranch_execz .LBB49_29
; %bb.28:
	buffer_gl0_inv
                                        ; implicit-def: $vgpr9
.LBB49_29:
	s_and_not1_saveexec_b32 s0, s0
	s_cbranch_execz .LBB49_31
; %bb.30:
	ds_load_2addr_b64 v[5:8], v9 offset1:14
	s_waitcnt lgkmcnt(0)
	v_add_f64 v[5:6], v[7:8], v[5:6]
	ds_store_b64 v9, v[5:6]
	s_waitcnt lgkmcnt(0)
	buffer_gl0_inv
	ds_load_b64 v[5:6], v9
.LBB49_31:
	s_or_b32 exec_lo, exec_lo, s0
	s_waitcnt lgkmcnt(0)
	v_dual_mov_b32 v8, v6 :: v_dual_mov_b32 v7, v5
.LBB49_32:
	v_cmp_gt_u32_e32 vcc_lo, 14, v0
	s_and_b32 exec_lo, exec_lo, vcc_lo
	s_cbranch_execz .LBB49_37
; %bb.33:
	s_waitcnt lgkmcnt(0)
	v_mul_f64 v[3:4], v[3:4], v[7:8]
	s_mov_b32 s0, exec_lo
	v_cmpx_eq_f64_e32 0, v[1:2]
	s_xor_b32 s0, exec_lo, s0
	s_cbranch_execz .LBB49_35
; %bb.34:
	v_mad_u64_u32 v[1:2], null, s8, 14, v[0:1]
	v_mov_b32_e32 v2, 0
	s_delay_alu instid0(VALU_DEP_1) | instskip(NEXT) | instid1(VALU_DEP_1)
	v_lshlrev_b64 v[0:1], 3, v[1:2]
	v_add_co_u32 v0, vcc_lo, s2, v0
	s_delay_alu instid0(VALU_DEP_2)
	v_add_co_ci_u32_e32 v1, vcc_lo, s3, v1, vcc_lo
	global_store_b64 v[0:1], v[3:4], off
                                        ; implicit-def: $vgpr0
                                        ; implicit-def: $vgpr1_vgpr2
                                        ; implicit-def: $vgpr3_vgpr4
.LBB49_35:
	s_and_not1_saveexec_b32 s0, s0
	s_cbranch_execz .LBB49_37
; %bb.36:
	v_mad_u64_u32 v[5:6], null, s8, 14, v[0:1]
	v_mov_b32_e32 v6, 0
	s_delay_alu instid0(VALU_DEP_1) | instskip(NEXT) | instid1(VALU_DEP_1)
	v_lshlrev_b64 v[5:6], 3, v[5:6]
	v_add_co_u32 v5, vcc_lo, s2, v5
	s_delay_alu instid0(VALU_DEP_2)
	v_add_co_ci_u32_e32 v6, vcc_lo, s3, v6, vcc_lo
	global_load_b64 v[7:8], v[5:6], off
	s_waitcnt vmcnt(0)
	v_fma_f64 v[0:1], v[1:2], v[7:8], v[3:4]
	global_store_b64 v[5:6], v[0:1], off
.LBB49_37:
	s_nop 0
	s_sendmsg sendmsg(MSG_DEALLOC_VGPRS)
	s_endpgm
	.section	.rodata,"a",@progbits
	.p2align	6, 0x0
	.amdhsa_kernel _ZN9rocsparseL22gebsrmvn_mxn_16_kernelILj84ELj14ELj6EdEEvi20rocsparse_direction_NS_24const_host_device_scalarIT2_EEPKiS6_PKS3_iiS8_S4_PS3_21rocsparse_index_base_b
		.amdhsa_group_segment_fixed_size 672
		.amdhsa_private_segment_fixed_size 0
		.amdhsa_kernarg_size 80
		.amdhsa_user_sgpr_count 15
		.amdhsa_user_sgpr_dispatch_ptr 0
		.amdhsa_user_sgpr_queue_ptr 0
		.amdhsa_user_sgpr_kernarg_segment_ptr 1
		.amdhsa_user_sgpr_dispatch_id 0
		.amdhsa_user_sgpr_private_segment_size 0
		.amdhsa_wavefront_size32 1
		.amdhsa_uses_dynamic_stack 0
		.amdhsa_enable_private_segment 0
		.amdhsa_system_sgpr_workgroup_id_x 1
		.amdhsa_system_sgpr_workgroup_id_y 0
		.amdhsa_system_sgpr_workgroup_id_z 0
		.amdhsa_system_sgpr_workgroup_info 0
		.amdhsa_system_vgpr_workitem_id 0
		.amdhsa_next_free_vgpr 17
		.amdhsa_next_free_sgpr 16
		.amdhsa_reserve_vcc 1
		.amdhsa_float_round_mode_32 0
		.amdhsa_float_round_mode_16_64 0
		.amdhsa_float_denorm_mode_32 3
		.amdhsa_float_denorm_mode_16_64 3
		.amdhsa_dx10_clamp 1
		.amdhsa_ieee_mode 1
		.amdhsa_fp16_overflow 0
		.amdhsa_workgroup_processor_mode 1
		.amdhsa_memory_ordered 1
		.amdhsa_forward_progress 0
		.amdhsa_shared_vgpr_count 0
		.amdhsa_exception_fp_ieee_invalid_op 0
		.amdhsa_exception_fp_denorm_src 0
		.amdhsa_exception_fp_ieee_div_zero 0
		.amdhsa_exception_fp_ieee_overflow 0
		.amdhsa_exception_fp_ieee_underflow 0
		.amdhsa_exception_fp_ieee_inexact 0
		.amdhsa_exception_int_div_zero 0
	.end_amdhsa_kernel
	.section	.text._ZN9rocsparseL22gebsrmvn_mxn_16_kernelILj84ELj14ELj6EdEEvi20rocsparse_direction_NS_24const_host_device_scalarIT2_EEPKiS6_PKS3_iiS8_S4_PS3_21rocsparse_index_base_b,"axG",@progbits,_ZN9rocsparseL22gebsrmvn_mxn_16_kernelILj84ELj14ELj6EdEEvi20rocsparse_direction_NS_24const_host_device_scalarIT2_EEPKiS6_PKS3_iiS8_S4_PS3_21rocsparse_index_base_b,comdat
.Lfunc_end49:
	.size	_ZN9rocsparseL22gebsrmvn_mxn_16_kernelILj84ELj14ELj6EdEEvi20rocsparse_direction_NS_24const_host_device_scalarIT2_EEPKiS6_PKS3_iiS8_S4_PS3_21rocsparse_index_base_b, .Lfunc_end49-_ZN9rocsparseL22gebsrmvn_mxn_16_kernelILj84ELj14ELj6EdEEvi20rocsparse_direction_NS_24const_host_device_scalarIT2_EEPKiS6_PKS3_iiS8_S4_PS3_21rocsparse_index_base_b
                                        ; -- End function
	.section	.AMDGPU.csdata,"",@progbits
; Kernel info:
; codeLenInByte = 1304
; NumSgprs: 18
; NumVgprs: 17
; ScratchSize: 0
; MemoryBound: 0
; FloatMode: 240
; IeeeMode: 1
; LDSByteSize: 672 bytes/workgroup (compile time only)
; SGPRBlocks: 2
; VGPRBlocks: 2
; NumSGPRsForWavesPerEU: 18
; NumVGPRsForWavesPerEU: 17
; Occupancy: 16
; WaveLimiterHint : 1
; COMPUTE_PGM_RSRC2:SCRATCH_EN: 0
; COMPUTE_PGM_RSRC2:USER_SGPR: 15
; COMPUTE_PGM_RSRC2:TRAP_HANDLER: 0
; COMPUTE_PGM_RSRC2:TGID_X_EN: 1
; COMPUTE_PGM_RSRC2:TGID_Y_EN: 0
; COMPUTE_PGM_RSRC2:TGID_Z_EN: 0
; COMPUTE_PGM_RSRC2:TIDIG_COMP_CNT: 0
	.section	.text._ZN9rocsparseL22gebsrmvn_mxn_16_kernelILj98ELj14ELj7EdEEvi20rocsparse_direction_NS_24const_host_device_scalarIT2_EEPKiS6_PKS3_iiS8_S4_PS3_21rocsparse_index_base_b,"axG",@progbits,_ZN9rocsparseL22gebsrmvn_mxn_16_kernelILj98ELj14ELj7EdEEvi20rocsparse_direction_NS_24const_host_device_scalarIT2_EEPKiS6_PKS3_iiS8_S4_PS3_21rocsparse_index_base_b,comdat
	.globl	_ZN9rocsparseL22gebsrmvn_mxn_16_kernelILj98ELj14ELj7EdEEvi20rocsparse_direction_NS_24const_host_device_scalarIT2_EEPKiS6_PKS3_iiS8_S4_PS3_21rocsparse_index_base_b ; -- Begin function _ZN9rocsparseL22gebsrmvn_mxn_16_kernelILj98ELj14ELj7EdEEvi20rocsparse_direction_NS_24const_host_device_scalarIT2_EEPKiS6_PKS3_iiS8_S4_PS3_21rocsparse_index_base_b
	.p2align	8
	.type	_ZN9rocsparseL22gebsrmvn_mxn_16_kernelILj98ELj14ELj7EdEEvi20rocsparse_direction_NS_24const_host_device_scalarIT2_EEPKiS6_PKS3_iiS8_S4_PS3_21rocsparse_index_base_b,@function
_ZN9rocsparseL22gebsrmvn_mxn_16_kernelILj98ELj14ELj7EdEEvi20rocsparse_direction_NS_24const_host_device_scalarIT2_EEPKiS6_PKS3_iiS8_S4_PS3_21rocsparse_index_base_b: ; @_ZN9rocsparseL22gebsrmvn_mxn_16_kernelILj98ELj14ELj7EdEEvi20rocsparse_direction_NS_24const_host_device_scalarIT2_EEPKiS6_PKS3_iiS8_S4_PS3_21rocsparse_index_base_b
; %bb.0:
	s_clause 0x2
	s_load_b64 s[10:11], s[0:1], 0x48
	s_load_b64 s[4:5], s[0:1], 0x8
	;; [unrolled: 1-line block ×3, first 2 shown]
	s_mov_b32 s8, s15
	s_waitcnt lgkmcnt(0)
	s_bitcmp1_b32 s11, 0
	v_dual_mov_b32 v3, s4 :: v_dual_mov_b32 v4, s5
	s_cselect_b32 s6, -1, 0
	s_delay_alu instid0(SALU_CYCLE_1)
	s_and_b32 vcc_lo, exec_lo, s6
	s_xor_b32 s6, s6, -1
	s_cbranch_vccnz .LBB50_2
; %bb.1:
	v_dual_mov_b32 v1, s4 :: v_dual_mov_b32 v2, s5
	flat_load_b64 v[3:4], v[1:2]
.LBB50_2:
	v_dual_mov_b32 v1, s2 :: v_dual_mov_b32 v2, s3
	s_and_not1_b32 vcc_lo, exec_lo, s6
	s_cbranch_vccnz .LBB50_4
; %bb.3:
	v_dual_mov_b32 v1, s2 :: v_dual_mov_b32 v2, s3
	flat_load_b64 v[1:2], v[1:2]
.LBB50_4:
	s_waitcnt vmcnt(0) lgkmcnt(0)
	v_cmp_neq_f64_e32 vcc_lo, 0, v[3:4]
	v_cmp_neq_f64_e64 s2, 1.0, v[1:2]
	s_delay_alu instid0(VALU_DEP_1) | instskip(NEXT) | instid1(SALU_CYCLE_1)
	s_or_b32 s2, vcc_lo, s2
	s_and_saveexec_b32 s3, s2
	s_cbranch_execz .LBB50_37
; %bb.5:
	v_mul_u32_u24_e32 v5, 0x2493, v0
	s_clause 0x1
	s_load_b32 s4, s[0:1], 0x4
	s_load_b64 s[2:3], s[0:1], 0x10
	s_delay_alu instid0(VALU_DEP_1) | instskip(NEXT) | instid1(VALU_DEP_1)
	v_lshrrev_b32_e32 v5, 16, v5
	v_mul_lo_u16 v5, v5, 7
	s_delay_alu instid0(VALU_DEP_1) | instskip(NEXT) | instid1(VALU_DEP_1)
	v_sub_nc_u16 v5, v0, v5
	v_and_b32_e32 v12, 0xffff, v5
	s_waitcnt lgkmcnt(0)
	s_cmp_lg_u32 s4, 1
	v_and_b32_e32 v8, 0xffff, v0
	s_cselect_b32 s11, -1, 0
	v_mov_b32_e32 v7, v12
	s_and_b32 vcc_lo, exec_lo, s11
	s_cbranch_vccnz .LBB50_7
; %bb.6:
	v_mul_u32_u24_e32 v5, 0x124a, v8
	s_delay_alu instid0(VALU_DEP_1) | instskip(NEXT) | instid1(VALU_DEP_1)
	v_lshrrev_b32_e32 v5, 16, v5
	v_mul_lo_u16 v6, v5, 37
	s_delay_alu instid0(VALU_DEP_1) | instskip(NEXT) | instid1(VALU_DEP_1)
	v_lshrrev_b16 v6, 8, v6
	v_mul_lo_u16 v6, v6, 7
	s_delay_alu instid0(VALU_DEP_1) | instskip(NEXT) | instid1(VALU_DEP_1)
	v_sub_nc_u16 v5, v5, v6
	v_and_b32_e32 v7, 0xff, v5
.LBB50_7:
	s_ashr_i32 s9, s8, 31
	v_mov_b32_e32 v5, 0
	s_lshl_b64 s[4:5], s[8:9], 2
	v_mov_b32_e32 v6, 0
	s_add_u32 s2, s2, s4
	s_addc_u32 s3, s3, s5
	s_load_b64 s[12:13], s[2:3], 0x0
	s_load_b64 s[2:3], s[0:1], 0x40
	s_waitcnt lgkmcnt(0)
	s_cmp_ge_i32 s12, s13
	s_cbranch_scc1 .LBB50_12
; %bb.8:
	s_clause 0x1
	s_load_b128 s[4:7], s[0:1], 0x18
	s_load_b64 s[0:1], s[0:1], 0x30
	v_mad_u64_u32 v[5:6], null, 0x62, s12, v[0:1]
	v_mul_u32_u24_e32 v6, 0x29d, v8
	s_mul_i32 s9, s10, 0x62
	s_sub_i32 s12, s12, s10
	v_mov_b32_e32 v9, 0
	s_delay_alu instid0(VALU_DEP_2) | instskip(NEXT) | instid1(VALU_DEP_4)
	v_lshrrev_b32_e32 v13, 16, v6
	v_subrev_nc_u32_e32 v8, s9, v5
	v_mov_b32_e32 v5, 0
	v_mov_b32_e32 v6, 0
	s_sub_i32 s9, s13, s10
	s_set_inst_prefetch_distance 0x1
	s_branch .LBB50_10
	.p2align	6
.LBB50_9:                               ;   in Loop: Header=BB50_10 Depth=1
	s_or_b32 exec_lo, exec_lo, s13
	v_add_nc_u32_e32 v8, 0x62, v8
	s_add_i32 s12, s12, 1
	s_delay_alu instid0(SALU_CYCLE_1)
	s_cmp_ge_i32 s12, s9
	s_cbranch_scc1 .LBB50_12
.LBB50_10:                              ; =>This Inner Loop Header: Depth=1
	v_add_nc_u32_e32 v10, s12, v13
	s_mov_b32 s13, exec_lo
	s_delay_alu instid0(VALU_DEP_1)
	v_cmpx_gt_i32_e64 s9, v10
	s_cbranch_execz .LBB50_9
; %bb.11:                               ;   in Loop: Header=BB50_10 Depth=1
	v_ashrrev_i32_e32 v11, 31, v10
	s_delay_alu instid0(VALU_DEP_1) | instskip(SKIP_1) | instid1(VALU_DEP_1)
	v_lshlrev_b64 v[10:11], 2, v[10:11]
	s_waitcnt lgkmcnt(0)
	v_add_co_u32 v10, vcc_lo, s4, v10
	s_delay_alu instid0(VALU_DEP_2) | instskip(SKIP_3) | instid1(VALU_DEP_1)
	v_add_co_ci_u32_e32 v11, vcc_lo, s5, v11, vcc_lo
	global_load_b32 v10, v[10:11], off
	s_waitcnt vmcnt(0)
	v_subrev_nc_u32_e32 v14, s10, v10
	v_mad_u64_u32 v[10:11], null, v14, 7, v[7:8]
	v_lshlrev_b64 v[14:15], 3, v[8:9]
	s_delay_alu instid0(VALU_DEP_1) | instskip(NEXT) | instid1(VALU_DEP_3)
	v_add_co_u32 v14, vcc_lo, s6, v14
	v_ashrrev_i32_e32 v11, 31, v10
	s_delay_alu instid0(VALU_DEP_3) | instskip(NEXT) | instid1(VALU_DEP_2)
	v_add_co_ci_u32_e32 v15, vcc_lo, s7, v15, vcc_lo
	v_lshlrev_b64 v[10:11], 3, v[10:11]
	s_delay_alu instid0(VALU_DEP_1) | instskip(NEXT) | instid1(VALU_DEP_2)
	v_add_co_u32 v10, vcc_lo, s0, v10
	v_add_co_ci_u32_e32 v11, vcc_lo, s1, v11, vcc_lo
	global_load_b64 v[14:15], v[14:15], off
	global_load_b64 v[10:11], v[10:11], off
	s_waitcnt vmcnt(0)
	v_fma_f64 v[5:6], v[14:15], v[10:11], v[5:6]
	s_branch .LBB50_9
.LBB50_12:
	s_set_inst_prefetch_distance 0x2
	v_lshlrev_b32_e32 v9, 3, v0
	s_and_b32 vcc_lo, exec_lo, s11
	ds_store_b64 v9, v[5:6]
	s_waitcnt lgkmcnt(0)
	s_barrier
	buffer_gl0_inv
	s_cbranch_vccz .LBB50_22
; %bb.13:
	s_mov_b32 s0, exec_lo
	v_cmpx_gt_u16_e32 3, v12
	s_cbranch_execz .LBB50_15
; %bb.14:
	ds_load_2addr_b64 v[13:16], v9 offset1:4
	s_waitcnt lgkmcnt(0)
	v_add_f64 v[7:8], v[15:16], v[13:14]
	ds_store_b64 v9, v[7:8]
.LBB50_15:
	s_or_b32 exec_lo, exec_lo, s0
	s_delay_alu instid0(SALU_CYCLE_1)
	s_mov_b32 s0, exec_lo
	s_waitcnt lgkmcnt(0)
	s_barrier
	buffer_gl0_inv
	v_cmpx_gt_u16_e32 2, v12
	s_cbranch_execz .LBB50_17
; %bb.16:
	ds_load_2addr_b64 v[13:16], v9 offset1:2
	s_waitcnt lgkmcnt(0)
	v_add_f64 v[7:8], v[15:16], v[13:14]
	ds_store_b64 v9, v[7:8]
.LBB50_17:
	s_or_b32 exec_lo, exec_lo, s0
	s_delay_alu instid0(SALU_CYCLE_1)
	s_mov_b32 s0, exec_lo
	s_waitcnt lgkmcnt(0)
	s_barrier
	buffer_gl0_inv
	v_cmpx_eq_u16_e32 0, v12
	s_cbranch_execz .LBB50_19
; %bb.18:
	ds_load_2addr_b64 v[10:13], v9 offset1:1
	s_waitcnt lgkmcnt(0)
	v_add_f64 v[7:8], v[12:13], v[10:11]
	ds_store_b64 v9, v[7:8]
.LBB50_19:
	s_or_b32 exec_lo, exec_lo, s0
	v_dual_mov_b32 v8, v6 :: v_dual_mov_b32 v7, v5
	s_mov_b32 s0, exec_lo
	s_waitcnt lgkmcnt(0)
	s_barrier
	buffer_gl0_inv
	v_cmpx_gt_u32_e32 14, v0
	s_cbranch_execz .LBB50_21
; %bb.20:
	v_mad_u32_u24 v7, v0, 48, v9
	ds_load_b64 v[7:8], v7
.LBB50_21:
	s_or_b32 exec_lo, exec_lo, s0
	s_branch .LBB50_32
.LBB50_22:
                                        ; implicit-def: $vgpr7_vgpr8
	s_cbranch_execz .LBB50_32
; %bb.23:
	s_mov_b32 s0, exec_lo
	v_cmpx_gt_u32_e32 42, v0
	s_cbranch_execz .LBB50_25
; %bb.24:
	ds_load_2addr_b64 v[10:13], v9 offset1:56
	s_waitcnt lgkmcnt(0)
	v_add_f64 v[7:8], v[12:13], v[10:11]
	ds_store_b64 v9, v[7:8]
.LBB50_25:
	s_or_b32 exec_lo, exec_lo, s0
	s_delay_alu instid0(SALU_CYCLE_1)
	s_mov_b32 s0, exec_lo
	s_waitcnt lgkmcnt(0)
	s_barrier
	buffer_gl0_inv
	v_cmpx_gt_u32_e32 28, v0
	s_cbranch_execz .LBB50_27
; %bb.26:
	ds_load_2addr_b64 v[10:13], v9 offset1:28
	s_waitcnt lgkmcnt(0)
	v_add_f64 v[7:8], v[12:13], v[10:11]
	ds_store_b64 v9, v[7:8]
.LBB50_27:
	s_or_b32 exec_lo, exec_lo, s0
	s_delay_alu instid0(SALU_CYCLE_1)
	s_mov_b32 s0, exec_lo
	s_waitcnt lgkmcnt(0)
	buffer_gl0_inv
	v_cmpx_lt_u32_e32 13, v0
	s_xor_b32 s0, exec_lo, s0
	s_cbranch_execz .LBB50_29
; %bb.28:
	buffer_gl0_inv
                                        ; implicit-def: $vgpr9
.LBB50_29:
	s_and_not1_saveexec_b32 s0, s0
	s_cbranch_execz .LBB50_31
; %bb.30:
	ds_load_2addr_b64 v[5:8], v9 offset1:14
	s_waitcnt lgkmcnt(0)
	v_add_f64 v[5:6], v[7:8], v[5:6]
	ds_store_b64 v9, v[5:6]
	s_waitcnt lgkmcnt(0)
	buffer_gl0_inv
	ds_load_b64 v[5:6], v9
.LBB50_31:
	s_or_b32 exec_lo, exec_lo, s0
	s_waitcnt lgkmcnt(0)
	v_dual_mov_b32 v8, v6 :: v_dual_mov_b32 v7, v5
.LBB50_32:
	v_cmp_gt_u32_e32 vcc_lo, 14, v0
	s_and_b32 exec_lo, exec_lo, vcc_lo
	s_cbranch_execz .LBB50_37
; %bb.33:
	s_waitcnt lgkmcnt(0)
	v_mul_f64 v[3:4], v[3:4], v[7:8]
	s_mov_b32 s0, exec_lo
	v_cmpx_eq_f64_e32 0, v[1:2]
	s_xor_b32 s0, exec_lo, s0
	s_cbranch_execz .LBB50_35
; %bb.34:
	v_mad_u64_u32 v[1:2], null, s8, 14, v[0:1]
	v_mov_b32_e32 v2, 0
	s_delay_alu instid0(VALU_DEP_1) | instskip(NEXT) | instid1(VALU_DEP_1)
	v_lshlrev_b64 v[0:1], 3, v[1:2]
	v_add_co_u32 v0, vcc_lo, s2, v0
	s_delay_alu instid0(VALU_DEP_2)
	v_add_co_ci_u32_e32 v1, vcc_lo, s3, v1, vcc_lo
	global_store_b64 v[0:1], v[3:4], off
                                        ; implicit-def: $vgpr0
                                        ; implicit-def: $vgpr1_vgpr2
                                        ; implicit-def: $vgpr3_vgpr4
.LBB50_35:
	s_and_not1_saveexec_b32 s0, s0
	s_cbranch_execz .LBB50_37
; %bb.36:
	v_mad_u64_u32 v[5:6], null, s8, 14, v[0:1]
	v_mov_b32_e32 v6, 0
	s_delay_alu instid0(VALU_DEP_1) | instskip(NEXT) | instid1(VALU_DEP_1)
	v_lshlrev_b64 v[5:6], 3, v[5:6]
	v_add_co_u32 v5, vcc_lo, s2, v5
	s_delay_alu instid0(VALU_DEP_2)
	v_add_co_ci_u32_e32 v6, vcc_lo, s3, v6, vcc_lo
	global_load_b64 v[7:8], v[5:6], off
	s_waitcnt vmcnt(0)
	v_fma_f64 v[0:1], v[1:2], v[7:8], v[3:4]
	global_store_b64 v[5:6], v[0:1], off
.LBB50_37:
	s_nop 0
	s_sendmsg sendmsg(MSG_DEALLOC_VGPRS)
	s_endpgm
	.section	.rodata,"a",@progbits
	.p2align	6, 0x0
	.amdhsa_kernel _ZN9rocsparseL22gebsrmvn_mxn_16_kernelILj98ELj14ELj7EdEEvi20rocsparse_direction_NS_24const_host_device_scalarIT2_EEPKiS6_PKS3_iiS8_S4_PS3_21rocsparse_index_base_b
		.amdhsa_group_segment_fixed_size 784
		.amdhsa_private_segment_fixed_size 0
		.amdhsa_kernarg_size 80
		.amdhsa_user_sgpr_count 15
		.amdhsa_user_sgpr_dispatch_ptr 0
		.amdhsa_user_sgpr_queue_ptr 0
		.amdhsa_user_sgpr_kernarg_segment_ptr 1
		.amdhsa_user_sgpr_dispatch_id 0
		.amdhsa_user_sgpr_private_segment_size 0
		.amdhsa_wavefront_size32 1
		.amdhsa_uses_dynamic_stack 0
		.amdhsa_enable_private_segment 0
		.amdhsa_system_sgpr_workgroup_id_x 1
		.amdhsa_system_sgpr_workgroup_id_y 0
		.amdhsa_system_sgpr_workgroup_id_z 0
		.amdhsa_system_sgpr_workgroup_info 0
		.amdhsa_system_vgpr_workitem_id 0
		.amdhsa_next_free_vgpr 17
		.amdhsa_next_free_sgpr 16
		.amdhsa_reserve_vcc 1
		.amdhsa_float_round_mode_32 0
		.amdhsa_float_round_mode_16_64 0
		.amdhsa_float_denorm_mode_32 3
		.amdhsa_float_denorm_mode_16_64 3
		.amdhsa_dx10_clamp 1
		.amdhsa_ieee_mode 1
		.amdhsa_fp16_overflow 0
		.amdhsa_workgroup_processor_mode 1
		.amdhsa_memory_ordered 1
		.amdhsa_forward_progress 0
		.amdhsa_shared_vgpr_count 0
		.amdhsa_exception_fp_ieee_invalid_op 0
		.amdhsa_exception_fp_denorm_src 0
		.amdhsa_exception_fp_ieee_div_zero 0
		.amdhsa_exception_fp_ieee_overflow 0
		.amdhsa_exception_fp_ieee_underflow 0
		.amdhsa_exception_fp_ieee_inexact 0
		.amdhsa_exception_int_div_zero 0
	.end_amdhsa_kernel
	.section	.text._ZN9rocsparseL22gebsrmvn_mxn_16_kernelILj98ELj14ELj7EdEEvi20rocsparse_direction_NS_24const_host_device_scalarIT2_EEPKiS6_PKS3_iiS8_S4_PS3_21rocsparse_index_base_b,"axG",@progbits,_ZN9rocsparseL22gebsrmvn_mxn_16_kernelILj98ELj14ELj7EdEEvi20rocsparse_direction_NS_24const_host_device_scalarIT2_EEPKiS6_PKS3_iiS8_S4_PS3_21rocsparse_index_base_b,comdat
.Lfunc_end50:
	.size	_ZN9rocsparseL22gebsrmvn_mxn_16_kernelILj98ELj14ELj7EdEEvi20rocsparse_direction_NS_24const_host_device_scalarIT2_EEPKiS6_PKS3_iiS8_S4_PS3_21rocsparse_index_base_b, .Lfunc_end50-_ZN9rocsparseL22gebsrmvn_mxn_16_kernelILj98ELj14ELj7EdEEvi20rocsparse_direction_NS_24const_host_device_scalarIT2_EEPKiS6_PKS3_iiS8_S4_PS3_21rocsparse_index_base_b
                                        ; -- End function
	.section	.AMDGPU.csdata,"",@progbits
; Kernel info:
; codeLenInByte = 1320
; NumSgprs: 18
; NumVgprs: 17
; ScratchSize: 0
; MemoryBound: 0
; FloatMode: 240
; IeeeMode: 1
; LDSByteSize: 784 bytes/workgroup (compile time only)
; SGPRBlocks: 2
; VGPRBlocks: 2
; NumSGPRsForWavesPerEU: 18
; NumVGPRsForWavesPerEU: 17
; Occupancy: 16
; WaveLimiterHint : 1
; COMPUTE_PGM_RSRC2:SCRATCH_EN: 0
; COMPUTE_PGM_RSRC2:USER_SGPR: 15
; COMPUTE_PGM_RSRC2:TRAP_HANDLER: 0
; COMPUTE_PGM_RSRC2:TGID_X_EN: 1
; COMPUTE_PGM_RSRC2:TGID_Y_EN: 0
; COMPUTE_PGM_RSRC2:TGID_Z_EN: 0
; COMPUTE_PGM_RSRC2:TIDIG_COMP_CNT: 0
	.section	.text._ZN9rocsparseL22gebsrmvn_mxn_16_kernelILj112ELj14ELj8EdEEvi20rocsparse_direction_NS_24const_host_device_scalarIT2_EEPKiS6_PKS3_iiS8_S4_PS3_21rocsparse_index_base_b,"axG",@progbits,_ZN9rocsparseL22gebsrmvn_mxn_16_kernelILj112ELj14ELj8EdEEvi20rocsparse_direction_NS_24const_host_device_scalarIT2_EEPKiS6_PKS3_iiS8_S4_PS3_21rocsparse_index_base_b,comdat
	.globl	_ZN9rocsparseL22gebsrmvn_mxn_16_kernelILj112ELj14ELj8EdEEvi20rocsparse_direction_NS_24const_host_device_scalarIT2_EEPKiS6_PKS3_iiS8_S4_PS3_21rocsparse_index_base_b ; -- Begin function _ZN9rocsparseL22gebsrmvn_mxn_16_kernelILj112ELj14ELj8EdEEvi20rocsparse_direction_NS_24const_host_device_scalarIT2_EEPKiS6_PKS3_iiS8_S4_PS3_21rocsparse_index_base_b
	.p2align	8
	.type	_ZN9rocsparseL22gebsrmvn_mxn_16_kernelILj112ELj14ELj8EdEEvi20rocsparse_direction_NS_24const_host_device_scalarIT2_EEPKiS6_PKS3_iiS8_S4_PS3_21rocsparse_index_base_b,@function
_ZN9rocsparseL22gebsrmvn_mxn_16_kernelILj112ELj14ELj8EdEEvi20rocsparse_direction_NS_24const_host_device_scalarIT2_EEPKiS6_PKS3_iiS8_S4_PS3_21rocsparse_index_base_b: ; @_ZN9rocsparseL22gebsrmvn_mxn_16_kernelILj112ELj14ELj8EdEEvi20rocsparse_direction_NS_24const_host_device_scalarIT2_EEPKiS6_PKS3_iiS8_S4_PS3_21rocsparse_index_base_b
; %bb.0:
	s_clause 0x2
	s_load_b64 s[10:11], s[0:1], 0x48
	s_load_b64 s[4:5], s[0:1], 0x8
	;; [unrolled: 1-line block ×3, first 2 shown]
	s_mov_b32 s8, s15
	s_waitcnt lgkmcnt(0)
	s_bitcmp1_b32 s11, 0
	v_dual_mov_b32 v3, s4 :: v_dual_mov_b32 v4, s5
	s_cselect_b32 s6, -1, 0
	s_delay_alu instid0(SALU_CYCLE_1)
	s_and_b32 vcc_lo, exec_lo, s6
	s_xor_b32 s6, s6, -1
	s_cbranch_vccnz .LBB51_2
; %bb.1:
	v_dual_mov_b32 v1, s4 :: v_dual_mov_b32 v2, s5
	flat_load_b64 v[3:4], v[1:2]
.LBB51_2:
	v_dual_mov_b32 v1, s2 :: v_dual_mov_b32 v2, s3
	s_and_not1_b32 vcc_lo, exec_lo, s6
	s_cbranch_vccnz .LBB51_4
; %bb.3:
	v_dual_mov_b32 v1, s2 :: v_dual_mov_b32 v2, s3
	flat_load_b64 v[1:2], v[1:2]
.LBB51_4:
	s_waitcnt vmcnt(0) lgkmcnt(0)
	v_cmp_neq_f64_e32 vcc_lo, 0, v[3:4]
	v_cmp_neq_f64_e64 s2, 1.0, v[1:2]
	s_delay_alu instid0(VALU_DEP_1) | instskip(NEXT) | instid1(SALU_CYCLE_1)
	s_or_b32 s2, vcc_lo, s2
	s_and_saveexec_b32 s3, s2
	s_cbranch_execz .LBB51_37
; %bb.5:
	s_clause 0x1
	s_load_b32 s4, s[0:1], 0x4
	s_load_b64 s[2:3], s[0:1], 0x10
	v_and_b32_e32 v11, 7, v0
	s_delay_alu instid0(VALU_DEP_1) | instskip(SKIP_3) | instid1(SALU_CYCLE_1)
	v_mov_b32_e32 v12, v11
	s_waitcnt lgkmcnt(0)
	s_cmp_lg_u32 s4, 1
	s_cselect_b32 s11, -1, 0
	s_and_b32 vcc_lo, exec_lo, s11
	s_cbranch_vccnz .LBB51_7
; %bb.6:
	v_mul_u32_u24_e32 v5, 0x124a, v0
	s_delay_alu instid0(VALU_DEP_1)
	v_bfe_u32 v12, v5, 16, 3
.LBB51_7:
	s_ashr_i32 s9, s8, 31
	v_mov_b32_e32 v5, 0
	s_lshl_b64 s[4:5], s[8:9], 2
	v_mov_b32_e32 v6, 0
	s_add_u32 s2, s2, s4
	s_addc_u32 s3, s3, s5
	s_load_b64 s[12:13], s[2:3], 0x0
	s_load_b64 s[2:3], s[0:1], 0x40
	s_waitcnt lgkmcnt(0)
	s_cmp_ge_i32 s12, s13
	s_cbranch_scc1 .LBB51_12
; %bb.8:
	s_clause 0x1
	s_load_b128 s[4:7], s[0:1], 0x18
	s_load_b64 s[0:1], s[0:1], 0x30
	v_mad_u64_u32 v[5:6], null, 0x70, s12, v[0:1]
	v_mul_u32_u24_e32 v6, 0x24a, v0
	s_mul_i32 s9, s10, 0x70
	s_sub_i32 s12, s12, s10
	v_mov_b32_e32 v8, 0
	s_delay_alu instid0(VALU_DEP_2) | instskip(NEXT) | instid1(VALU_DEP_4)
	v_lshrrev_b32_e32 v13, 16, v6
	v_subrev_nc_u32_e32 v7, s9, v5
	v_mov_b32_e32 v5, 0
	v_mov_b32_e32 v6, 0
	s_sub_i32 s9, s13, s10
	s_set_inst_prefetch_distance 0x1
	s_branch .LBB51_10
	.p2align	6
.LBB51_9:                               ;   in Loop: Header=BB51_10 Depth=1
	s_or_b32 exec_lo, exec_lo, s13
	v_add_nc_u32_e32 v7, 0x70, v7
	s_add_i32 s12, s12, 1
	s_delay_alu instid0(SALU_CYCLE_1)
	s_cmp_ge_i32 s12, s9
	s_cbranch_scc1 .LBB51_12
.LBB51_10:                              ; =>This Inner Loop Header: Depth=1
	v_add_nc_u32_e32 v9, s12, v13
	s_mov_b32 s13, exec_lo
	s_delay_alu instid0(VALU_DEP_1)
	v_cmpx_gt_i32_e64 s9, v9
	s_cbranch_execz .LBB51_9
; %bb.11:                               ;   in Loop: Header=BB51_10 Depth=1
	v_ashrrev_i32_e32 v10, 31, v9
	v_lshlrev_b64 v[14:15], 3, v[7:8]
	s_delay_alu instid0(VALU_DEP_2) | instskip(SKIP_1) | instid1(VALU_DEP_1)
	v_lshlrev_b64 v[9:10], 2, v[9:10]
	s_waitcnt lgkmcnt(0)
	v_add_co_u32 v9, vcc_lo, s4, v9
	s_delay_alu instid0(VALU_DEP_2) | instskip(NEXT) | instid1(VALU_DEP_4)
	v_add_co_ci_u32_e32 v10, vcc_lo, s5, v10, vcc_lo
	v_add_co_u32 v14, vcc_lo, s6, v14
	v_add_co_ci_u32_e32 v15, vcc_lo, s7, v15, vcc_lo
	global_load_b32 v9, v[9:10], off
	s_waitcnt vmcnt(0)
	v_subrev_nc_u32_e32 v9, s10, v9
	s_delay_alu instid0(VALU_DEP_1) | instskip(NEXT) | instid1(VALU_DEP_1)
	v_lshl_or_b32 v9, v9, 3, v12
	v_ashrrev_i32_e32 v10, 31, v9
	s_delay_alu instid0(VALU_DEP_1) | instskip(NEXT) | instid1(VALU_DEP_1)
	v_lshlrev_b64 v[9:10], 3, v[9:10]
	v_add_co_u32 v9, vcc_lo, s0, v9
	s_delay_alu instid0(VALU_DEP_2)
	v_add_co_ci_u32_e32 v10, vcc_lo, s1, v10, vcc_lo
	global_load_b64 v[14:15], v[14:15], off
	global_load_b64 v[9:10], v[9:10], off
	s_waitcnt vmcnt(0)
	v_fma_f64 v[5:6], v[14:15], v[9:10], v[5:6]
	s_branch .LBB51_9
.LBB51_12:
	s_set_inst_prefetch_distance 0x2
	v_lshlrev_b32_e32 v9, 3, v0
	s_and_b32 vcc_lo, exec_lo, s11
	ds_store_b64 v9, v[5:6]
	s_waitcnt lgkmcnt(0)
	s_barrier
	buffer_gl0_inv
	s_cbranch_vccz .LBB51_22
; %bb.13:
	s_mov_b32 s0, exec_lo
	v_cmpx_gt_u32_e32 4, v11
	s_cbranch_execz .LBB51_15
; %bb.14:
	ds_load_2addr_b64 v[12:15], v9 offset1:4
	s_waitcnt lgkmcnt(0)
	v_add_f64 v[7:8], v[14:15], v[12:13]
	ds_store_b64 v9, v[7:8]
.LBB51_15:
	s_or_b32 exec_lo, exec_lo, s0
	s_delay_alu instid0(SALU_CYCLE_1)
	s_mov_b32 s0, exec_lo
	s_waitcnt lgkmcnt(0)
	s_barrier
	buffer_gl0_inv
	v_cmpx_gt_u32_e32 2, v11
	s_cbranch_execz .LBB51_17
; %bb.16:
	ds_load_2addr_b64 v[12:15], v9 offset1:2
	s_waitcnt lgkmcnt(0)
	v_add_f64 v[7:8], v[14:15], v[12:13]
	ds_store_b64 v9, v[7:8]
.LBB51_17:
	s_or_b32 exec_lo, exec_lo, s0
	s_delay_alu instid0(SALU_CYCLE_1)
	s_mov_b32 s0, exec_lo
	s_waitcnt lgkmcnt(0)
	s_barrier
	buffer_gl0_inv
	v_cmpx_eq_u32_e32 0, v11
	s_cbranch_execz .LBB51_19
; %bb.18:
	ds_load_2addr_b64 v[10:13], v9 offset1:1
	s_waitcnt lgkmcnt(0)
	v_add_f64 v[7:8], v[12:13], v[10:11]
	ds_store_b64 v9, v[7:8]
.LBB51_19:
	s_or_b32 exec_lo, exec_lo, s0
	v_dual_mov_b32 v8, v6 :: v_dual_mov_b32 v7, v5
	s_mov_b32 s0, exec_lo
	s_waitcnt lgkmcnt(0)
	s_barrier
	buffer_gl0_inv
	v_cmpx_gt_u32_e32 14, v0
	s_cbranch_execz .LBB51_21
; %bb.20:
	v_mad_u32_u24 v7, v0, 56, v9
	ds_load_b64 v[7:8], v7
.LBB51_21:
	s_or_b32 exec_lo, exec_lo, s0
	s_branch .LBB51_32
.LBB51_22:
                                        ; implicit-def: $vgpr7_vgpr8
	s_cbranch_execz .LBB51_32
; %bb.23:
	s_mov_b32 s0, exec_lo
	v_cmpx_gt_u32_e32 56, v0
	s_cbranch_execz .LBB51_25
; %bb.24:
	ds_load_2addr_b64 v[10:13], v9 offset1:56
	s_waitcnt lgkmcnt(0)
	v_add_f64 v[7:8], v[12:13], v[10:11]
	ds_store_b64 v9, v[7:8]
.LBB51_25:
	s_or_b32 exec_lo, exec_lo, s0
	s_delay_alu instid0(SALU_CYCLE_1)
	s_mov_b32 s0, exec_lo
	s_waitcnt lgkmcnt(0)
	s_barrier
	buffer_gl0_inv
	v_cmpx_gt_u32_e32 28, v0
	s_cbranch_execz .LBB51_27
; %bb.26:
	ds_load_2addr_b64 v[10:13], v9 offset1:28
	s_waitcnt lgkmcnt(0)
	v_add_f64 v[7:8], v[12:13], v[10:11]
	ds_store_b64 v9, v[7:8]
.LBB51_27:
	s_or_b32 exec_lo, exec_lo, s0
	s_delay_alu instid0(SALU_CYCLE_1)
	s_mov_b32 s0, exec_lo
	s_waitcnt lgkmcnt(0)
	buffer_gl0_inv
	v_cmpx_lt_u32_e32 13, v0
	s_xor_b32 s0, exec_lo, s0
	s_cbranch_execz .LBB51_29
; %bb.28:
	buffer_gl0_inv
                                        ; implicit-def: $vgpr9
.LBB51_29:
	s_and_not1_saveexec_b32 s0, s0
	s_cbranch_execz .LBB51_31
; %bb.30:
	ds_load_2addr_b64 v[5:8], v9 offset1:14
	s_waitcnt lgkmcnt(0)
	v_add_f64 v[5:6], v[7:8], v[5:6]
	ds_store_b64 v9, v[5:6]
	s_waitcnt lgkmcnt(0)
	buffer_gl0_inv
	ds_load_b64 v[5:6], v9
.LBB51_31:
	s_or_b32 exec_lo, exec_lo, s0
	s_waitcnt lgkmcnt(0)
	v_dual_mov_b32 v8, v6 :: v_dual_mov_b32 v7, v5
.LBB51_32:
	v_cmp_gt_u32_e32 vcc_lo, 14, v0
	s_and_b32 exec_lo, exec_lo, vcc_lo
	s_cbranch_execz .LBB51_37
; %bb.33:
	s_waitcnt lgkmcnt(0)
	v_mul_f64 v[3:4], v[3:4], v[7:8]
	s_mov_b32 s0, exec_lo
	v_cmpx_eq_f64_e32 0, v[1:2]
	s_xor_b32 s0, exec_lo, s0
	s_cbranch_execz .LBB51_35
; %bb.34:
	v_mad_u64_u32 v[1:2], null, s8, 14, v[0:1]
	v_mov_b32_e32 v2, 0
	s_delay_alu instid0(VALU_DEP_1) | instskip(NEXT) | instid1(VALU_DEP_1)
	v_lshlrev_b64 v[0:1], 3, v[1:2]
	v_add_co_u32 v0, vcc_lo, s2, v0
	s_delay_alu instid0(VALU_DEP_2)
	v_add_co_ci_u32_e32 v1, vcc_lo, s3, v1, vcc_lo
	global_store_b64 v[0:1], v[3:4], off
                                        ; implicit-def: $vgpr0
                                        ; implicit-def: $vgpr1_vgpr2
                                        ; implicit-def: $vgpr3_vgpr4
.LBB51_35:
	s_and_not1_saveexec_b32 s0, s0
	s_cbranch_execz .LBB51_37
; %bb.36:
	v_mad_u64_u32 v[5:6], null, s8, 14, v[0:1]
	v_mov_b32_e32 v6, 0
	s_delay_alu instid0(VALU_DEP_1) | instskip(NEXT) | instid1(VALU_DEP_1)
	v_lshlrev_b64 v[5:6], 3, v[5:6]
	v_add_co_u32 v5, vcc_lo, s2, v5
	s_delay_alu instid0(VALU_DEP_2)
	v_add_co_ci_u32_e32 v6, vcc_lo, s3, v6, vcc_lo
	global_load_b64 v[7:8], v[5:6], off
	s_waitcnt vmcnt(0)
	v_fma_f64 v[0:1], v[1:2], v[7:8], v[3:4]
	global_store_b64 v[5:6], v[0:1], off
.LBB51_37:
	s_nop 0
	s_sendmsg sendmsg(MSG_DEALLOC_VGPRS)
	s_endpgm
	.section	.rodata,"a",@progbits
	.p2align	6, 0x0
	.amdhsa_kernel _ZN9rocsparseL22gebsrmvn_mxn_16_kernelILj112ELj14ELj8EdEEvi20rocsparse_direction_NS_24const_host_device_scalarIT2_EEPKiS6_PKS3_iiS8_S4_PS3_21rocsparse_index_base_b
		.amdhsa_group_segment_fixed_size 896
		.amdhsa_private_segment_fixed_size 0
		.amdhsa_kernarg_size 80
		.amdhsa_user_sgpr_count 15
		.amdhsa_user_sgpr_dispatch_ptr 0
		.amdhsa_user_sgpr_queue_ptr 0
		.amdhsa_user_sgpr_kernarg_segment_ptr 1
		.amdhsa_user_sgpr_dispatch_id 0
		.amdhsa_user_sgpr_private_segment_size 0
		.amdhsa_wavefront_size32 1
		.amdhsa_uses_dynamic_stack 0
		.amdhsa_enable_private_segment 0
		.amdhsa_system_sgpr_workgroup_id_x 1
		.amdhsa_system_sgpr_workgroup_id_y 0
		.amdhsa_system_sgpr_workgroup_id_z 0
		.amdhsa_system_sgpr_workgroup_info 0
		.amdhsa_system_vgpr_workitem_id 0
		.amdhsa_next_free_vgpr 16
		.amdhsa_next_free_sgpr 16
		.amdhsa_reserve_vcc 1
		.amdhsa_float_round_mode_32 0
		.amdhsa_float_round_mode_16_64 0
		.amdhsa_float_denorm_mode_32 3
		.amdhsa_float_denorm_mode_16_64 3
		.amdhsa_dx10_clamp 1
		.amdhsa_ieee_mode 1
		.amdhsa_fp16_overflow 0
		.amdhsa_workgroup_processor_mode 1
		.amdhsa_memory_ordered 1
		.amdhsa_forward_progress 0
		.amdhsa_shared_vgpr_count 0
		.amdhsa_exception_fp_ieee_invalid_op 0
		.amdhsa_exception_fp_denorm_src 0
		.amdhsa_exception_fp_ieee_div_zero 0
		.amdhsa_exception_fp_ieee_overflow 0
		.amdhsa_exception_fp_ieee_underflow 0
		.amdhsa_exception_fp_ieee_inexact 0
		.amdhsa_exception_int_div_zero 0
	.end_amdhsa_kernel
	.section	.text._ZN9rocsparseL22gebsrmvn_mxn_16_kernelILj112ELj14ELj8EdEEvi20rocsparse_direction_NS_24const_host_device_scalarIT2_EEPKiS6_PKS3_iiS8_S4_PS3_21rocsparse_index_base_b,"axG",@progbits,_ZN9rocsparseL22gebsrmvn_mxn_16_kernelILj112ELj14ELj8EdEEvi20rocsparse_direction_NS_24const_host_device_scalarIT2_EEPKiS6_PKS3_iiS8_S4_PS3_21rocsparse_index_base_b,comdat
.Lfunc_end51:
	.size	_ZN9rocsparseL22gebsrmvn_mxn_16_kernelILj112ELj14ELj8EdEEvi20rocsparse_direction_NS_24const_host_device_scalarIT2_EEPKiS6_PKS3_iiS8_S4_PS3_21rocsparse_index_base_b, .Lfunc_end51-_ZN9rocsparseL22gebsrmvn_mxn_16_kernelILj112ELj14ELj8EdEEvi20rocsparse_direction_NS_24const_host_device_scalarIT2_EEPKiS6_PKS3_iiS8_S4_PS3_21rocsparse_index_base_b
                                        ; -- End function
	.section	.AMDGPU.csdata,"",@progbits
; Kernel info:
; codeLenInByte = 1232
; NumSgprs: 18
; NumVgprs: 16
; ScratchSize: 0
; MemoryBound: 0
; FloatMode: 240
; IeeeMode: 1
; LDSByteSize: 896 bytes/workgroup (compile time only)
; SGPRBlocks: 2
; VGPRBlocks: 1
; NumSGPRsForWavesPerEU: 18
; NumVGPRsForWavesPerEU: 16
; Occupancy: 16
; WaveLimiterHint : 1
; COMPUTE_PGM_RSRC2:SCRATCH_EN: 0
; COMPUTE_PGM_RSRC2:USER_SGPR: 15
; COMPUTE_PGM_RSRC2:TRAP_HANDLER: 0
; COMPUTE_PGM_RSRC2:TGID_X_EN: 1
; COMPUTE_PGM_RSRC2:TGID_Y_EN: 0
; COMPUTE_PGM_RSRC2:TGID_Z_EN: 0
; COMPUTE_PGM_RSRC2:TIDIG_COMP_CNT: 0
	.section	.text._ZN9rocsparseL22gebsrmvn_mxn_16_kernelILj60ELj15ELj1EdEEvi20rocsparse_direction_NS_24const_host_device_scalarIT2_EEPKiS6_PKS3_iiS8_S4_PS3_21rocsparse_index_base_b,"axG",@progbits,_ZN9rocsparseL22gebsrmvn_mxn_16_kernelILj60ELj15ELj1EdEEvi20rocsparse_direction_NS_24const_host_device_scalarIT2_EEPKiS6_PKS3_iiS8_S4_PS3_21rocsparse_index_base_b,comdat
	.globl	_ZN9rocsparseL22gebsrmvn_mxn_16_kernelILj60ELj15ELj1EdEEvi20rocsparse_direction_NS_24const_host_device_scalarIT2_EEPKiS6_PKS3_iiS8_S4_PS3_21rocsparse_index_base_b ; -- Begin function _ZN9rocsparseL22gebsrmvn_mxn_16_kernelILj60ELj15ELj1EdEEvi20rocsparse_direction_NS_24const_host_device_scalarIT2_EEPKiS6_PKS3_iiS8_S4_PS3_21rocsparse_index_base_b
	.p2align	8
	.type	_ZN9rocsparseL22gebsrmvn_mxn_16_kernelILj60ELj15ELj1EdEEvi20rocsparse_direction_NS_24const_host_device_scalarIT2_EEPKiS6_PKS3_iiS8_S4_PS3_21rocsparse_index_base_b,@function
_ZN9rocsparseL22gebsrmvn_mxn_16_kernelILj60ELj15ELj1EdEEvi20rocsparse_direction_NS_24const_host_device_scalarIT2_EEPKiS6_PKS3_iiS8_S4_PS3_21rocsparse_index_base_b: ; @_ZN9rocsparseL22gebsrmvn_mxn_16_kernelILj60ELj15ELj1EdEEvi20rocsparse_direction_NS_24const_host_device_scalarIT2_EEPKiS6_PKS3_iiS8_S4_PS3_21rocsparse_index_base_b
; %bb.0:
	s_clause 0x2
	s_load_b64 s[10:11], s[0:1], 0x48
	s_load_b64 s[4:5], s[0:1], 0x8
	;; [unrolled: 1-line block ×3, first 2 shown]
	s_mov_b32 s8, s15
	s_waitcnt lgkmcnt(0)
	s_bitcmp1_b32 s11, 0
	v_dual_mov_b32 v3, s4 :: v_dual_mov_b32 v4, s5
	s_cselect_b32 s6, -1, 0
	s_delay_alu instid0(SALU_CYCLE_1)
	s_and_b32 vcc_lo, exec_lo, s6
	s_xor_b32 s6, s6, -1
	s_cbranch_vccnz .LBB52_2
; %bb.1:
	v_dual_mov_b32 v1, s4 :: v_dual_mov_b32 v2, s5
	flat_load_b64 v[3:4], v[1:2]
.LBB52_2:
	v_dual_mov_b32 v1, s2 :: v_dual_mov_b32 v2, s3
	s_and_not1_b32 vcc_lo, exec_lo, s6
	s_cbranch_vccnz .LBB52_4
; %bb.3:
	v_dual_mov_b32 v1, s2 :: v_dual_mov_b32 v2, s3
	flat_load_b64 v[1:2], v[1:2]
.LBB52_4:
	s_waitcnt vmcnt(0) lgkmcnt(0)
	v_cmp_neq_f64_e32 vcc_lo, 0, v[3:4]
	v_cmp_neq_f64_e64 s2, 1.0, v[1:2]
	s_delay_alu instid0(VALU_DEP_1) | instskip(NEXT) | instid1(SALU_CYCLE_1)
	s_or_b32 s2, vcc_lo, s2
	s_and_saveexec_b32 s3, s2
	s_cbranch_execz .LBB52_24
; %bb.5:
	s_load_b64 s[2:3], s[0:1], 0x10
	s_ashr_i32 s9, s8, 31
	s_delay_alu instid0(SALU_CYCLE_1)
	s_lshl_b64 s[4:5], s[8:9], 2
	s_waitcnt lgkmcnt(0)
	s_add_u32 s2, s2, s4
	s_addc_u32 s3, s3, s5
	s_load_b64 s[12:13], s[2:3], 0x0
	s_waitcnt lgkmcnt(0)
	s_cmp_lt_i32 s12, s13
	s_cbranch_scc1 .LBB52_7
; %bb.6:
	s_mov_b32 s6, 0
	s_mov_b64 s[4:5], 0
	s_branch .LBB52_8
.LBB52_7:
	s_mov_b32 s6, -1
                                        ; implicit-def: $sgpr4_sgpr5
.LBB52_8:
	s_load_b64 s[2:3], s[0:1], 0x40
	v_dual_mov_b32 v6, s5 :: v_dual_mov_b32 v5, s4
	s_and_not1_b32 vcc_lo, exec_lo, s6
	s_cbranch_vccnz .LBB52_13
; %bb.9:
	s_clause 0x1
	s_load_b128 s[4:7], s[0:1], 0x18
	s_load_b64 s[0:1], s[0:1], 0x30
	v_mad_u64_u32 v[5:6], null, s12, 15, v[0:1]
	v_mul_u32_u24_e32 v6, 0x1112, v0
	s_mul_i32 s9, s10, 15
	s_sub_i32 s11, s12, s10
	v_mov_b32_e32 v8, 0
	s_delay_alu instid0(VALU_DEP_2) | instskip(NEXT) | instid1(VALU_DEP_4)
	v_lshrrev_b32_e32 v11, 16, v6
	v_subrev_nc_u32_e32 v7, s9, v5
	v_mov_b32_e32 v5, 0
	v_mov_b32_e32 v6, 0
	s_sub_i32 s9, s13, s10
	s_set_inst_prefetch_distance 0x1
	s_branch .LBB52_11
	.p2align	6
.LBB52_10:                              ;   in Loop: Header=BB52_11 Depth=1
	s_or_b32 exec_lo, exec_lo, s12
	v_add_nc_u32_e32 v7, 60, v7
	s_add_i32 s11, s11, 4
	s_delay_alu instid0(SALU_CYCLE_1)
	s_cmp_ge_i32 s11, s9
	s_cbranch_scc1 .LBB52_13
.LBB52_11:                              ; =>This Inner Loop Header: Depth=1
	v_add_nc_u32_e32 v9, s11, v11
	s_mov_b32 s12, exec_lo
	s_delay_alu instid0(VALU_DEP_1)
	v_cmpx_gt_i32_e64 s9, v9
	s_cbranch_execz .LBB52_10
; %bb.12:                               ;   in Loop: Header=BB52_11 Depth=1
	v_ashrrev_i32_e32 v10, 31, v9
	v_lshlrev_b64 v[12:13], 3, v[7:8]
	s_delay_alu instid0(VALU_DEP_2) | instskip(SKIP_1) | instid1(VALU_DEP_1)
	v_lshlrev_b64 v[9:10], 2, v[9:10]
	s_waitcnt lgkmcnt(0)
	v_add_co_u32 v9, vcc_lo, s4, v9
	s_delay_alu instid0(VALU_DEP_2) | instskip(NEXT) | instid1(VALU_DEP_4)
	v_add_co_ci_u32_e32 v10, vcc_lo, s5, v10, vcc_lo
	v_add_co_u32 v12, vcc_lo, s6, v12
	v_add_co_ci_u32_e32 v13, vcc_lo, s7, v13, vcc_lo
	global_load_b32 v9, v[9:10], off
	s_waitcnt vmcnt(0)
	v_subrev_nc_u32_e32 v9, s10, v9
	s_delay_alu instid0(VALU_DEP_1) | instskip(NEXT) | instid1(VALU_DEP_1)
	v_ashrrev_i32_e32 v10, 31, v9
	v_lshlrev_b64 v[9:10], 3, v[9:10]
	s_delay_alu instid0(VALU_DEP_1) | instskip(NEXT) | instid1(VALU_DEP_2)
	v_add_co_u32 v9, vcc_lo, s0, v9
	v_add_co_ci_u32_e32 v10, vcc_lo, s1, v10, vcc_lo
	global_load_b64 v[12:13], v[12:13], off
	global_load_b64 v[9:10], v[9:10], off
	s_waitcnt vmcnt(0)
	v_fma_f64 v[5:6], v[12:13], v[9:10], v[5:6]
	s_branch .LBB52_10
.LBB52_13:
	s_set_inst_prefetch_distance 0x2
	v_lshlrev_b32_e32 v7, 3, v0
	s_waitcnt lgkmcnt(0)
	s_mov_b32 s0, exec_lo
	ds_store_b64 v7, v[5:6]
	s_waitcnt lgkmcnt(0)
	s_barrier
	buffer_gl0_inv
	v_cmpx_gt_u32_e32 30, v0
	s_cbranch_execz .LBB52_15
; %bb.14:
	ds_load_2addr_b64 v[8:11], v7 offset1:30
	s_waitcnt lgkmcnt(0)
	v_add_f64 v[8:9], v[10:11], v[8:9]
	ds_store_b64 v7, v[8:9]
.LBB52_15:
	s_or_b32 exec_lo, exec_lo, s0
	v_cmp_gt_u32_e32 vcc_lo, 15, v0
	s_waitcnt lgkmcnt(0)
	s_barrier
	buffer_gl0_inv
	s_and_saveexec_b32 s0, vcc_lo
	s_cbranch_execz .LBB52_17
; %bb.16:
	ds_load_2addr_b64 v[8:11], v7 offset1:15
	s_waitcnt lgkmcnt(0)
	v_add_f64 v[8:9], v[10:11], v[8:9]
	ds_store_b64 v7, v[8:9]
.LBB52_17:
	s_or_b32 exec_lo, exec_lo, s0
	s_waitcnt lgkmcnt(0)
	s_barrier
	buffer_gl0_inv
	s_and_saveexec_b32 s0, vcc_lo
	s_cbranch_execz .LBB52_19
; %bb.18:
	ds_load_b64 v[5:6], v7
.LBB52_19:
	s_or_b32 exec_lo, exec_lo, s0
	s_delay_alu instid0(SALU_CYCLE_1)
	s_and_b32 exec_lo, exec_lo, vcc_lo
	s_cbranch_execz .LBB52_24
; %bb.20:
	s_waitcnt lgkmcnt(0)
	v_mul_f64 v[3:4], v[3:4], v[5:6]
	s_mov_b32 s0, exec_lo
	v_cmpx_eq_f64_e32 0, v[1:2]
	s_xor_b32 s0, exec_lo, s0
	s_cbranch_execz .LBB52_22
; %bb.21:
	v_mad_u64_u32 v[1:2], null, s8, 15, v[0:1]
	v_mov_b32_e32 v2, 0
	s_delay_alu instid0(VALU_DEP_1) | instskip(NEXT) | instid1(VALU_DEP_1)
	v_lshlrev_b64 v[0:1], 3, v[1:2]
	v_add_co_u32 v0, vcc_lo, s2, v0
	s_delay_alu instid0(VALU_DEP_2)
	v_add_co_ci_u32_e32 v1, vcc_lo, s3, v1, vcc_lo
	global_store_b64 v[0:1], v[3:4], off
                                        ; implicit-def: $vgpr0
                                        ; implicit-def: $vgpr1_vgpr2
                                        ; implicit-def: $vgpr3_vgpr4
.LBB52_22:
	s_and_not1_saveexec_b32 s0, s0
	s_cbranch_execz .LBB52_24
; %bb.23:
	v_mad_u64_u32 v[5:6], null, s8, 15, v[0:1]
	v_mov_b32_e32 v6, 0
	s_delay_alu instid0(VALU_DEP_1) | instskip(NEXT) | instid1(VALU_DEP_1)
	v_lshlrev_b64 v[5:6], 3, v[5:6]
	v_add_co_u32 v5, vcc_lo, s2, v5
	s_delay_alu instid0(VALU_DEP_2)
	v_add_co_ci_u32_e32 v6, vcc_lo, s3, v6, vcc_lo
	global_load_b64 v[7:8], v[5:6], off
	s_waitcnt vmcnt(0)
	v_fma_f64 v[0:1], v[1:2], v[7:8], v[3:4]
	global_store_b64 v[5:6], v[0:1], off
.LBB52_24:
	s_nop 0
	s_sendmsg sendmsg(MSG_DEALLOC_VGPRS)
	s_endpgm
	.section	.rodata,"a",@progbits
	.p2align	6, 0x0
	.amdhsa_kernel _ZN9rocsparseL22gebsrmvn_mxn_16_kernelILj60ELj15ELj1EdEEvi20rocsparse_direction_NS_24const_host_device_scalarIT2_EEPKiS6_PKS3_iiS8_S4_PS3_21rocsparse_index_base_b
		.amdhsa_group_segment_fixed_size 480
		.amdhsa_private_segment_fixed_size 0
		.amdhsa_kernarg_size 80
		.amdhsa_user_sgpr_count 15
		.amdhsa_user_sgpr_dispatch_ptr 0
		.amdhsa_user_sgpr_queue_ptr 0
		.amdhsa_user_sgpr_kernarg_segment_ptr 1
		.amdhsa_user_sgpr_dispatch_id 0
		.amdhsa_user_sgpr_private_segment_size 0
		.amdhsa_wavefront_size32 1
		.amdhsa_uses_dynamic_stack 0
		.amdhsa_enable_private_segment 0
		.amdhsa_system_sgpr_workgroup_id_x 1
		.amdhsa_system_sgpr_workgroup_id_y 0
		.amdhsa_system_sgpr_workgroup_id_z 0
		.amdhsa_system_sgpr_workgroup_info 0
		.amdhsa_system_vgpr_workitem_id 0
		.amdhsa_next_free_vgpr 14
		.amdhsa_next_free_sgpr 16
		.amdhsa_reserve_vcc 1
		.amdhsa_float_round_mode_32 0
		.amdhsa_float_round_mode_16_64 0
		.amdhsa_float_denorm_mode_32 3
		.amdhsa_float_denorm_mode_16_64 3
		.amdhsa_dx10_clamp 1
		.amdhsa_ieee_mode 1
		.amdhsa_fp16_overflow 0
		.amdhsa_workgroup_processor_mode 1
		.amdhsa_memory_ordered 1
		.amdhsa_forward_progress 0
		.amdhsa_shared_vgpr_count 0
		.amdhsa_exception_fp_ieee_invalid_op 0
		.amdhsa_exception_fp_denorm_src 0
		.amdhsa_exception_fp_ieee_div_zero 0
		.amdhsa_exception_fp_ieee_overflow 0
		.amdhsa_exception_fp_ieee_underflow 0
		.amdhsa_exception_fp_ieee_inexact 0
		.amdhsa_exception_int_div_zero 0
	.end_amdhsa_kernel
	.section	.text._ZN9rocsparseL22gebsrmvn_mxn_16_kernelILj60ELj15ELj1EdEEvi20rocsparse_direction_NS_24const_host_device_scalarIT2_EEPKiS6_PKS3_iiS8_S4_PS3_21rocsparse_index_base_b,"axG",@progbits,_ZN9rocsparseL22gebsrmvn_mxn_16_kernelILj60ELj15ELj1EdEEvi20rocsparse_direction_NS_24const_host_device_scalarIT2_EEPKiS6_PKS3_iiS8_S4_PS3_21rocsparse_index_base_b,comdat
.Lfunc_end52:
	.size	_ZN9rocsparseL22gebsrmvn_mxn_16_kernelILj60ELj15ELj1EdEEvi20rocsparse_direction_NS_24const_host_device_scalarIT2_EEPKiS6_PKS3_iiS8_S4_PS3_21rocsparse_index_base_b, .Lfunc_end52-_ZN9rocsparseL22gebsrmvn_mxn_16_kernelILj60ELj15ELj1EdEEvi20rocsparse_direction_NS_24const_host_device_scalarIT2_EEPKiS6_PKS3_iiS8_S4_PS3_21rocsparse_index_base_b
                                        ; -- End function
	.section	.AMDGPU.csdata,"",@progbits
; Kernel info:
; codeLenInByte = 856
; NumSgprs: 18
; NumVgprs: 14
; ScratchSize: 0
; MemoryBound: 0
; FloatMode: 240
; IeeeMode: 1
; LDSByteSize: 480 bytes/workgroup (compile time only)
; SGPRBlocks: 2
; VGPRBlocks: 1
; NumSGPRsForWavesPerEU: 18
; NumVGPRsForWavesPerEU: 14
; Occupancy: 16
; WaveLimiterHint : 1
; COMPUTE_PGM_RSRC2:SCRATCH_EN: 0
; COMPUTE_PGM_RSRC2:USER_SGPR: 15
; COMPUTE_PGM_RSRC2:TRAP_HANDLER: 0
; COMPUTE_PGM_RSRC2:TGID_X_EN: 1
; COMPUTE_PGM_RSRC2:TGID_Y_EN: 0
; COMPUTE_PGM_RSRC2:TGID_Z_EN: 0
; COMPUTE_PGM_RSRC2:TIDIG_COMP_CNT: 0
	.section	.text._ZN9rocsparseL22gebsrmvn_mxn_16_kernelILj60ELj15ELj2EdEEvi20rocsparse_direction_NS_24const_host_device_scalarIT2_EEPKiS6_PKS3_iiS8_S4_PS3_21rocsparse_index_base_b,"axG",@progbits,_ZN9rocsparseL22gebsrmvn_mxn_16_kernelILj60ELj15ELj2EdEEvi20rocsparse_direction_NS_24const_host_device_scalarIT2_EEPKiS6_PKS3_iiS8_S4_PS3_21rocsparse_index_base_b,comdat
	.globl	_ZN9rocsparseL22gebsrmvn_mxn_16_kernelILj60ELj15ELj2EdEEvi20rocsparse_direction_NS_24const_host_device_scalarIT2_EEPKiS6_PKS3_iiS8_S4_PS3_21rocsparse_index_base_b ; -- Begin function _ZN9rocsparseL22gebsrmvn_mxn_16_kernelILj60ELj15ELj2EdEEvi20rocsparse_direction_NS_24const_host_device_scalarIT2_EEPKiS6_PKS3_iiS8_S4_PS3_21rocsparse_index_base_b
	.p2align	8
	.type	_ZN9rocsparseL22gebsrmvn_mxn_16_kernelILj60ELj15ELj2EdEEvi20rocsparse_direction_NS_24const_host_device_scalarIT2_EEPKiS6_PKS3_iiS8_S4_PS3_21rocsparse_index_base_b,@function
_ZN9rocsparseL22gebsrmvn_mxn_16_kernelILj60ELj15ELj2EdEEvi20rocsparse_direction_NS_24const_host_device_scalarIT2_EEPKiS6_PKS3_iiS8_S4_PS3_21rocsparse_index_base_b: ; @_ZN9rocsparseL22gebsrmvn_mxn_16_kernelILj60ELj15ELj2EdEEvi20rocsparse_direction_NS_24const_host_device_scalarIT2_EEPKiS6_PKS3_iiS8_S4_PS3_21rocsparse_index_base_b
; %bb.0:
	s_clause 0x2
	s_load_b64 s[10:11], s[0:1], 0x48
	s_load_b64 s[4:5], s[0:1], 0x8
	;; [unrolled: 1-line block ×3, first 2 shown]
	s_mov_b32 s8, s15
	s_waitcnt lgkmcnt(0)
	s_bitcmp1_b32 s11, 0
	v_dual_mov_b32 v3, s4 :: v_dual_mov_b32 v4, s5
	s_cselect_b32 s6, -1, 0
	s_delay_alu instid0(SALU_CYCLE_1)
	s_and_b32 vcc_lo, exec_lo, s6
	s_xor_b32 s6, s6, -1
	s_cbranch_vccnz .LBB53_2
; %bb.1:
	v_dual_mov_b32 v1, s4 :: v_dual_mov_b32 v2, s5
	flat_load_b64 v[3:4], v[1:2]
.LBB53_2:
	v_dual_mov_b32 v1, s2 :: v_dual_mov_b32 v2, s3
	s_and_not1_b32 vcc_lo, exec_lo, s6
	s_cbranch_vccnz .LBB53_4
; %bb.3:
	v_dual_mov_b32 v1, s2 :: v_dual_mov_b32 v2, s3
	flat_load_b64 v[1:2], v[1:2]
.LBB53_4:
	s_waitcnt vmcnt(0) lgkmcnt(0)
	v_cmp_neq_f64_e32 vcc_lo, 0, v[3:4]
	v_cmp_neq_f64_e64 s2, 1.0, v[1:2]
	s_delay_alu instid0(VALU_DEP_1) | instskip(NEXT) | instid1(SALU_CYCLE_1)
	s_or_b32 s2, vcc_lo, s2
	s_and_saveexec_b32 s3, s2
	s_cbranch_execz .LBB53_31
; %bb.5:
	s_clause 0x1
	s_load_b32 s4, s[0:1], 0x4
	s_load_b64 s[2:3], s[0:1], 0x10
	v_and_b32_e32 v11, 1, v0
	s_delay_alu instid0(VALU_DEP_1) | instskip(SKIP_3) | instid1(SALU_CYCLE_1)
	v_mov_b32_e32 v12, v11
	s_waitcnt lgkmcnt(0)
	s_cmp_lg_u32 s4, 1
	s_cselect_b32 s11, -1, 0
	s_and_b32 vcc_lo, exec_lo, s11
	s_cbranch_vccnz .LBB53_7
; %bb.6:
	v_mul_u32_u24_e32 v5, 0x1112, v0
	s_delay_alu instid0(VALU_DEP_1)
	v_bfe_u32 v12, v5, 16, 1
.LBB53_7:
	s_ashr_i32 s9, s8, 31
	v_mov_b32_e32 v5, 0
	s_lshl_b64 s[4:5], s[8:9], 2
	v_mov_b32_e32 v6, 0
	s_add_u32 s2, s2, s4
	s_addc_u32 s3, s3, s5
	s_load_b64 s[12:13], s[2:3], 0x0
	s_load_b64 s[2:3], s[0:1], 0x40
	s_waitcnt lgkmcnt(0)
	s_cmp_ge_i32 s12, s13
	s_cbranch_scc1 .LBB53_12
; %bb.8:
	s_clause 0x1
	s_load_b128 s[4:7], s[0:1], 0x18
	s_load_b64 s[0:1], s[0:1], 0x30
	v_mad_u64_u32 v[5:6], null, s12, 30, v[0:1]
	v_mul_u32_u24_e32 v6, 0x889, v0
	s_mul_i32 s9, s10, 30
	s_sub_i32 s12, s12, s10
	v_mov_b32_e32 v8, 0
	s_delay_alu instid0(VALU_DEP_2) | instskip(NEXT) | instid1(VALU_DEP_4)
	v_lshrrev_b32_e32 v13, 16, v6
	v_subrev_nc_u32_e32 v7, s9, v5
	v_mov_b32_e32 v5, 0
	v_mov_b32_e32 v6, 0
	s_sub_i32 s9, s13, s10
	s_set_inst_prefetch_distance 0x1
	s_branch .LBB53_10
	.p2align	6
.LBB53_9:                               ;   in Loop: Header=BB53_10 Depth=1
	s_or_b32 exec_lo, exec_lo, s13
	v_add_nc_u32_e32 v7, 60, v7
	s_add_i32 s12, s12, 2
	s_delay_alu instid0(SALU_CYCLE_1)
	s_cmp_ge_i32 s12, s9
	s_cbranch_scc1 .LBB53_12
.LBB53_10:                              ; =>This Inner Loop Header: Depth=1
	v_add_nc_u32_e32 v9, s12, v13
	s_mov_b32 s13, exec_lo
	s_delay_alu instid0(VALU_DEP_1)
	v_cmpx_gt_i32_e64 s9, v9
	s_cbranch_execz .LBB53_9
; %bb.11:                               ;   in Loop: Header=BB53_10 Depth=1
	v_ashrrev_i32_e32 v10, 31, v9
	v_lshlrev_b64 v[14:15], 3, v[7:8]
	s_delay_alu instid0(VALU_DEP_2) | instskip(SKIP_1) | instid1(VALU_DEP_1)
	v_lshlrev_b64 v[9:10], 2, v[9:10]
	s_waitcnt lgkmcnt(0)
	v_add_co_u32 v9, vcc_lo, s4, v9
	s_delay_alu instid0(VALU_DEP_2) | instskip(NEXT) | instid1(VALU_DEP_4)
	v_add_co_ci_u32_e32 v10, vcc_lo, s5, v10, vcc_lo
	v_add_co_u32 v14, vcc_lo, s6, v14
	v_add_co_ci_u32_e32 v15, vcc_lo, s7, v15, vcc_lo
	global_load_b32 v9, v[9:10], off
	s_waitcnt vmcnt(0)
	v_subrev_nc_u32_e32 v9, s10, v9
	s_delay_alu instid0(VALU_DEP_1) | instskip(NEXT) | instid1(VALU_DEP_1)
	v_lshl_or_b32 v9, v9, 1, v12
	v_ashrrev_i32_e32 v10, 31, v9
	s_delay_alu instid0(VALU_DEP_1) | instskip(NEXT) | instid1(VALU_DEP_1)
	v_lshlrev_b64 v[9:10], 3, v[9:10]
	v_add_co_u32 v9, vcc_lo, s0, v9
	s_delay_alu instid0(VALU_DEP_2)
	v_add_co_ci_u32_e32 v10, vcc_lo, s1, v10, vcc_lo
	global_load_b64 v[14:15], v[14:15], off
	global_load_b64 v[9:10], v[9:10], off
	s_waitcnt vmcnt(0)
	v_fma_f64 v[5:6], v[14:15], v[9:10], v[5:6]
	s_branch .LBB53_9
.LBB53_12:
	s_set_inst_prefetch_distance 0x2
	v_lshlrev_b32_e32 v9, 3, v0
	s_waitcnt lgkmcnt(0)
	s_mov_b32 s0, exec_lo
	ds_store_b64 v9, v[5:6]
	s_waitcnt lgkmcnt(0)
	s_barrier
	buffer_gl0_inv
	v_cmpx_gt_u32_e32 30, v0
	s_cbranch_execz .LBB53_14
; %bb.13:
	ds_load_2addr_b64 v[12:15], v9 offset1:30
	s_waitcnt lgkmcnt(0)
	v_add_f64 v[7:8], v[14:15], v[12:13]
	ds_store_b64 v9, v[7:8]
.LBB53_14:
	s_or_b32 exec_lo, exec_lo, s0
	s_delay_alu instid0(SALU_CYCLE_1)
	s_and_b32 vcc_lo, exec_lo, s11
	s_waitcnt lgkmcnt(0)
	s_barrier
	buffer_gl0_inv
	s_cbranch_vccz .LBB53_20
; %bb.15:
	s_mov_b32 s0, exec_lo
	v_cmpx_eq_u32_e32 0, v11
	s_cbranch_execz .LBB53_17
; %bb.16:
	ds_load_2addr_b64 v[10:13], v9 offset1:1
	s_waitcnt lgkmcnt(0)
	v_add_f64 v[7:8], v[12:13], v[10:11]
	ds_store_b64 v9, v[7:8]
.LBB53_17:
	s_or_b32 exec_lo, exec_lo, s0
	v_dual_mov_b32 v8, v6 :: v_dual_mov_b32 v7, v5
	s_mov_b32 s0, exec_lo
	s_waitcnt lgkmcnt(0)
	s_barrier
	buffer_gl0_inv
	v_cmpx_gt_u32_e32 15, v0
	s_cbranch_execz .LBB53_19
; %bb.18:
	v_lshl_add_u32 v7, v0, 3, v9
	ds_load_b64 v[7:8], v7
.LBB53_19:
	s_or_b32 exec_lo, exec_lo, s0
	s_branch .LBB53_26
.LBB53_20:
                                        ; implicit-def: $vgpr7_vgpr8
	s_cbranch_execz .LBB53_26
; %bb.21:
	s_mov_b32 s0, exec_lo
	v_cmpx_lt_u32_e32 14, v0
	s_xor_b32 s0, exec_lo, s0
	s_cbranch_execz .LBB53_23
; %bb.22:
	s_waitcnt lgkmcnt(0)
	buffer_gl0_inv
                                        ; implicit-def: $vgpr9
.LBB53_23:
	s_and_not1_saveexec_b32 s0, s0
	s_cbranch_execz .LBB53_25
; %bb.24:
	s_waitcnt lgkmcnt(0)
	ds_load_2addr_b64 v[5:8], v9 offset1:15
	s_waitcnt lgkmcnt(0)
	v_add_f64 v[5:6], v[7:8], v[5:6]
	ds_store_b64 v9, v[5:6]
	s_waitcnt lgkmcnt(0)
	buffer_gl0_inv
	ds_load_b64 v[5:6], v9
.LBB53_25:
	s_or_b32 exec_lo, exec_lo, s0
	s_waitcnt lgkmcnt(0)
	v_dual_mov_b32 v8, v6 :: v_dual_mov_b32 v7, v5
.LBB53_26:
	v_cmp_gt_u32_e32 vcc_lo, 15, v0
	s_and_b32 exec_lo, exec_lo, vcc_lo
	s_cbranch_execz .LBB53_31
; %bb.27:
	s_waitcnt lgkmcnt(0)
	v_mul_f64 v[3:4], v[3:4], v[7:8]
	s_mov_b32 s0, exec_lo
	v_cmpx_eq_f64_e32 0, v[1:2]
	s_xor_b32 s0, exec_lo, s0
	s_cbranch_execz .LBB53_29
; %bb.28:
	v_mad_u64_u32 v[1:2], null, s8, 15, v[0:1]
	v_mov_b32_e32 v2, 0
	s_delay_alu instid0(VALU_DEP_1) | instskip(NEXT) | instid1(VALU_DEP_1)
	v_lshlrev_b64 v[0:1], 3, v[1:2]
	v_add_co_u32 v0, vcc_lo, s2, v0
	s_delay_alu instid0(VALU_DEP_2)
	v_add_co_ci_u32_e32 v1, vcc_lo, s3, v1, vcc_lo
	global_store_b64 v[0:1], v[3:4], off
                                        ; implicit-def: $vgpr0
                                        ; implicit-def: $vgpr1_vgpr2
                                        ; implicit-def: $vgpr3_vgpr4
.LBB53_29:
	s_and_not1_saveexec_b32 s0, s0
	s_cbranch_execz .LBB53_31
; %bb.30:
	v_mad_u64_u32 v[5:6], null, s8, 15, v[0:1]
	v_mov_b32_e32 v6, 0
	s_delay_alu instid0(VALU_DEP_1) | instskip(NEXT) | instid1(VALU_DEP_1)
	v_lshlrev_b64 v[5:6], 3, v[5:6]
	v_add_co_u32 v5, vcc_lo, s2, v5
	s_delay_alu instid0(VALU_DEP_2)
	v_add_co_ci_u32_e32 v6, vcc_lo, s3, v6, vcc_lo
	global_load_b64 v[7:8], v[5:6], off
	s_waitcnt vmcnt(0)
	v_fma_f64 v[0:1], v[1:2], v[7:8], v[3:4]
	global_store_b64 v[5:6], v[0:1], off
.LBB53_31:
	s_nop 0
	s_sendmsg sendmsg(MSG_DEALLOC_VGPRS)
	s_endpgm
	.section	.rodata,"a",@progbits
	.p2align	6, 0x0
	.amdhsa_kernel _ZN9rocsparseL22gebsrmvn_mxn_16_kernelILj60ELj15ELj2EdEEvi20rocsparse_direction_NS_24const_host_device_scalarIT2_EEPKiS6_PKS3_iiS8_S4_PS3_21rocsparse_index_base_b
		.amdhsa_group_segment_fixed_size 480
		.amdhsa_private_segment_fixed_size 0
		.amdhsa_kernarg_size 80
		.amdhsa_user_sgpr_count 15
		.amdhsa_user_sgpr_dispatch_ptr 0
		.amdhsa_user_sgpr_queue_ptr 0
		.amdhsa_user_sgpr_kernarg_segment_ptr 1
		.amdhsa_user_sgpr_dispatch_id 0
		.amdhsa_user_sgpr_private_segment_size 0
		.amdhsa_wavefront_size32 1
		.amdhsa_uses_dynamic_stack 0
		.amdhsa_enable_private_segment 0
		.amdhsa_system_sgpr_workgroup_id_x 1
		.amdhsa_system_sgpr_workgroup_id_y 0
		.amdhsa_system_sgpr_workgroup_id_z 0
		.amdhsa_system_sgpr_workgroup_info 0
		.amdhsa_system_vgpr_workitem_id 0
		.amdhsa_next_free_vgpr 16
		.amdhsa_next_free_sgpr 16
		.amdhsa_reserve_vcc 1
		.amdhsa_float_round_mode_32 0
		.amdhsa_float_round_mode_16_64 0
		.amdhsa_float_denorm_mode_32 3
		.amdhsa_float_denorm_mode_16_64 3
		.amdhsa_dx10_clamp 1
		.amdhsa_ieee_mode 1
		.amdhsa_fp16_overflow 0
		.amdhsa_workgroup_processor_mode 1
		.amdhsa_memory_ordered 1
		.amdhsa_forward_progress 0
		.amdhsa_shared_vgpr_count 0
		.amdhsa_exception_fp_ieee_invalid_op 0
		.amdhsa_exception_fp_denorm_src 0
		.amdhsa_exception_fp_ieee_div_zero 0
		.amdhsa_exception_fp_ieee_overflow 0
		.amdhsa_exception_fp_ieee_underflow 0
		.amdhsa_exception_fp_ieee_inexact 0
		.amdhsa_exception_int_div_zero 0
	.end_amdhsa_kernel
	.section	.text._ZN9rocsparseL22gebsrmvn_mxn_16_kernelILj60ELj15ELj2EdEEvi20rocsparse_direction_NS_24const_host_device_scalarIT2_EEPKiS6_PKS3_iiS8_S4_PS3_21rocsparse_index_base_b,"axG",@progbits,_ZN9rocsparseL22gebsrmvn_mxn_16_kernelILj60ELj15ELj2EdEEvi20rocsparse_direction_NS_24const_host_device_scalarIT2_EEPKiS6_PKS3_iiS8_S4_PS3_21rocsparse_index_base_b,comdat
.Lfunc_end53:
	.size	_ZN9rocsparseL22gebsrmvn_mxn_16_kernelILj60ELj15ELj2EdEEvi20rocsparse_direction_NS_24const_host_device_scalarIT2_EEPKiS6_PKS3_iiS8_S4_PS3_21rocsparse_index_base_b, .Lfunc_end53-_ZN9rocsparseL22gebsrmvn_mxn_16_kernelILj60ELj15ELj2EdEEvi20rocsparse_direction_NS_24const_host_device_scalarIT2_EEPKiS6_PKS3_iiS8_S4_PS3_21rocsparse_index_base_b
                                        ; -- End function
	.section	.AMDGPU.csdata,"",@progbits
; Kernel info:
; codeLenInByte = 1044
; NumSgprs: 18
; NumVgprs: 16
; ScratchSize: 0
; MemoryBound: 0
; FloatMode: 240
; IeeeMode: 1
; LDSByteSize: 480 bytes/workgroup (compile time only)
; SGPRBlocks: 2
; VGPRBlocks: 1
; NumSGPRsForWavesPerEU: 18
; NumVGPRsForWavesPerEU: 16
; Occupancy: 16
; WaveLimiterHint : 1
; COMPUTE_PGM_RSRC2:SCRATCH_EN: 0
; COMPUTE_PGM_RSRC2:USER_SGPR: 15
; COMPUTE_PGM_RSRC2:TRAP_HANDLER: 0
; COMPUTE_PGM_RSRC2:TGID_X_EN: 1
; COMPUTE_PGM_RSRC2:TGID_Y_EN: 0
; COMPUTE_PGM_RSRC2:TGID_Z_EN: 0
; COMPUTE_PGM_RSRC2:TIDIG_COMP_CNT: 0
	.section	.text._ZN9rocsparseL22gebsrmvn_mxn_16_kernelILj45ELj15ELj3EdEEvi20rocsparse_direction_NS_24const_host_device_scalarIT2_EEPKiS6_PKS3_iiS8_S4_PS3_21rocsparse_index_base_b,"axG",@progbits,_ZN9rocsparseL22gebsrmvn_mxn_16_kernelILj45ELj15ELj3EdEEvi20rocsparse_direction_NS_24const_host_device_scalarIT2_EEPKiS6_PKS3_iiS8_S4_PS3_21rocsparse_index_base_b,comdat
	.globl	_ZN9rocsparseL22gebsrmvn_mxn_16_kernelILj45ELj15ELj3EdEEvi20rocsparse_direction_NS_24const_host_device_scalarIT2_EEPKiS6_PKS3_iiS8_S4_PS3_21rocsparse_index_base_b ; -- Begin function _ZN9rocsparseL22gebsrmvn_mxn_16_kernelILj45ELj15ELj3EdEEvi20rocsparse_direction_NS_24const_host_device_scalarIT2_EEPKiS6_PKS3_iiS8_S4_PS3_21rocsparse_index_base_b
	.p2align	8
	.type	_ZN9rocsparseL22gebsrmvn_mxn_16_kernelILj45ELj15ELj3EdEEvi20rocsparse_direction_NS_24const_host_device_scalarIT2_EEPKiS6_PKS3_iiS8_S4_PS3_21rocsparse_index_base_b,@function
_ZN9rocsparseL22gebsrmvn_mxn_16_kernelILj45ELj15ELj3EdEEvi20rocsparse_direction_NS_24const_host_device_scalarIT2_EEPKiS6_PKS3_iiS8_S4_PS3_21rocsparse_index_base_b: ; @_ZN9rocsparseL22gebsrmvn_mxn_16_kernelILj45ELj15ELj3EdEEvi20rocsparse_direction_NS_24const_host_device_scalarIT2_EEPKiS6_PKS3_iiS8_S4_PS3_21rocsparse_index_base_b
; %bb.0:
	s_clause 0x2
	s_load_b64 s[10:11], s[0:1], 0x48
	s_load_b64 s[4:5], s[0:1], 0x8
	;; [unrolled: 1-line block ×3, first 2 shown]
	s_mov_b32 s8, s15
	s_waitcnt lgkmcnt(0)
	s_bitcmp1_b32 s11, 0
	v_dual_mov_b32 v3, s4 :: v_dual_mov_b32 v4, s5
	s_cselect_b32 s6, -1, 0
	s_delay_alu instid0(SALU_CYCLE_1)
	s_and_b32 vcc_lo, exec_lo, s6
	s_xor_b32 s6, s6, -1
	s_cbranch_vccnz .LBB54_2
; %bb.1:
	v_dual_mov_b32 v1, s4 :: v_dual_mov_b32 v2, s5
	flat_load_b64 v[3:4], v[1:2]
.LBB54_2:
	v_dual_mov_b32 v1, s2 :: v_dual_mov_b32 v2, s3
	s_and_not1_b32 vcc_lo, exec_lo, s6
	s_cbranch_vccnz .LBB54_4
; %bb.3:
	v_dual_mov_b32 v1, s2 :: v_dual_mov_b32 v2, s3
	flat_load_b64 v[1:2], v[1:2]
.LBB54_4:
	s_waitcnt vmcnt(0) lgkmcnt(0)
	v_cmp_neq_f64_e32 vcc_lo, 0, v[3:4]
	v_cmp_neq_f64_e64 s2, 1.0, v[1:2]
	s_delay_alu instid0(VALU_DEP_1) | instskip(NEXT) | instid1(SALU_CYCLE_1)
	s_or_b32 s2, vcc_lo, s2
	s_and_saveexec_b32 s3, s2
	s_cbranch_execz .LBB54_33
; %bb.5:
	v_mul_u32_u24_e32 v5, 0x5556, v0
	s_clause 0x1
	s_load_b32 s4, s[0:1], 0x4
	s_load_b64 s[2:3], s[0:1], 0x10
	s_delay_alu instid0(VALU_DEP_1) | instskip(NEXT) | instid1(VALU_DEP_1)
	v_lshrrev_b32_e32 v5, 16, v5
	v_mul_lo_u16 v5, v5, 3
	s_delay_alu instid0(VALU_DEP_1) | instskip(NEXT) | instid1(VALU_DEP_1)
	v_sub_nc_u16 v5, v0, v5
	v_and_b32_e32 v12, 0xffff, v5
	s_waitcnt lgkmcnt(0)
	s_cmp_lg_u32 s4, 1
	v_and_b32_e32 v8, 0xffff, v0
	s_cselect_b32 s11, -1, 0
	v_mov_b32_e32 v7, v12
	s_and_b32 vcc_lo, exec_lo, s11
	s_cbranch_vccnz .LBB54_7
; %bb.6:
	v_mul_u32_u24_e32 v5, 0x1112, v8
	s_delay_alu instid0(VALU_DEP_1) | instskip(NEXT) | instid1(VALU_DEP_1)
	v_lshrrev_b32_e32 v5, 16, v5
	v_mul_lo_u16 v6, 0x56, v5
	s_delay_alu instid0(VALU_DEP_1) | instskip(NEXT) | instid1(VALU_DEP_1)
	v_lshrrev_b16 v6, 8, v6
	v_mul_lo_u16 v6, v6, 3
	s_delay_alu instid0(VALU_DEP_1) | instskip(NEXT) | instid1(VALU_DEP_1)
	v_sub_nc_u16 v5, v5, v6
	v_and_b32_e32 v7, 0xff, v5
.LBB54_7:
	s_ashr_i32 s9, s8, 31
	v_mov_b32_e32 v5, 0
	s_lshl_b64 s[4:5], s[8:9], 2
	v_mov_b32_e32 v6, 0
	s_add_u32 s2, s2, s4
	s_addc_u32 s3, s3, s5
	s_load_b64 s[12:13], s[2:3], 0x0
	s_load_b64 s[2:3], s[0:1], 0x40
	s_waitcnt lgkmcnt(0)
	s_cmp_ge_i32 s12, s13
	s_cbranch_scc1 .LBB54_12
; %bb.8:
	s_clause 0x1
	s_load_b128 s[4:7], s[0:1], 0x18
	s_load_b64 s[0:1], s[0:1], 0x30
	v_mad_u64_u32 v[5:6], null, s12, 45, v[0:1]
	v_mul_u32_u24_e32 v6, 0x5b1, v8
	s_mul_i32 s9, s10, 45
	s_sub_i32 s12, s12, s10
	v_mov_b32_e32 v9, 0
	s_delay_alu instid0(VALU_DEP_2) | instskip(NEXT) | instid1(VALU_DEP_4)
	v_lshrrev_b32_e32 v13, 16, v6
	v_subrev_nc_u32_e32 v8, s9, v5
	v_mov_b32_e32 v5, 0
	v_mov_b32_e32 v6, 0
	s_sub_i32 s9, s13, s10
	s_set_inst_prefetch_distance 0x1
	s_branch .LBB54_10
	.p2align	6
.LBB54_9:                               ;   in Loop: Header=BB54_10 Depth=1
	s_or_b32 exec_lo, exec_lo, s13
	v_add_nc_u32_e32 v8, 45, v8
	s_add_i32 s12, s12, 1
	s_delay_alu instid0(SALU_CYCLE_1)
	s_cmp_ge_i32 s12, s9
	s_cbranch_scc1 .LBB54_12
.LBB54_10:                              ; =>This Inner Loop Header: Depth=1
	v_add_nc_u32_e32 v10, s12, v13
	s_mov_b32 s13, exec_lo
	s_delay_alu instid0(VALU_DEP_1)
	v_cmpx_gt_i32_e64 s9, v10
	s_cbranch_execz .LBB54_9
; %bb.11:                               ;   in Loop: Header=BB54_10 Depth=1
	v_ashrrev_i32_e32 v11, 31, v10
	s_delay_alu instid0(VALU_DEP_1) | instskip(SKIP_1) | instid1(VALU_DEP_1)
	v_lshlrev_b64 v[10:11], 2, v[10:11]
	s_waitcnt lgkmcnt(0)
	v_add_co_u32 v10, vcc_lo, s4, v10
	s_delay_alu instid0(VALU_DEP_2) | instskip(SKIP_3) | instid1(VALU_DEP_1)
	v_add_co_ci_u32_e32 v11, vcc_lo, s5, v11, vcc_lo
	global_load_b32 v10, v[10:11], off
	s_waitcnt vmcnt(0)
	v_subrev_nc_u32_e32 v14, s10, v10
	v_mad_u64_u32 v[10:11], null, v14, 3, v[7:8]
	v_lshlrev_b64 v[14:15], 3, v[8:9]
	s_delay_alu instid0(VALU_DEP_1) | instskip(NEXT) | instid1(VALU_DEP_3)
	v_add_co_u32 v14, vcc_lo, s6, v14
	v_ashrrev_i32_e32 v11, 31, v10
	s_delay_alu instid0(VALU_DEP_3) | instskip(NEXT) | instid1(VALU_DEP_2)
	v_add_co_ci_u32_e32 v15, vcc_lo, s7, v15, vcc_lo
	v_lshlrev_b64 v[10:11], 3, v[10:11]
	s_delay_alu instid0(VALU_DEP_1) | instskip(NEXT) | instid1(VALU_DEP_2)
	v_add_co_u32 v10, vcc_lo, s0, v10
	v_add_co_ci_u32_e32 v11, vcc_lo, s1, v11, vcc_lo
	global_load_b64 v[14:15], v[14:15], off
	global_load_b64 v[10:11], v[10:11], off
	s_waitcnt vmcnt(0)
	v_fma_f64 v[5:6], v[14:15], v[10:11], v[5:6]
	s_branch .LBB54_9
.LBB54_12:
	s_set_inst_prefetch_distance 0x2
	v_lshlrev_b32_e32 v9, 3, v0
	s_and_b32 vcc_lo, exec_lo, s11
	ds_store_b64 v9, v[5:6]
	s_waitcnt lgkmcnt(0)
	s_barrier
	buffer_gl0_inv
	s_cbranch_vccz .LBB54_20
; %bb.13:
	v_cmp_eq_u16_e32 vcc_lo, 0, v12
	s_and_saveexec_b32 s0, vcc_lo
	s_cbranch_execz .LBB54_15
; %bb.14:
	ds_load_2addr_b64 v[10:13], v9 offset1:2
	s_waitcnt lgkmcnt(0)
	v_add_f64 v[7:8], v[12:13], v[10:11]
	ds_store_b64 v9, v[7:8]
.LBB54_15:
	s_or_b32 exec_lo, exec_lo, s0
	s_waitcnt lgkmcnt(0)
	s_barrier
	buffer_gl0_inv
	s_and_saveexec_b32 s0, vcc_lo
	s_cbranch_execz .LBB54_17
; %bb.16:
	ds_load_2addr_b64 v[10:13], v9 offset1:1
	s_waitcnt lgkmcnt(0)
	v_add_f64 v[7:8], v[12:13], v[10:11]
	ds_store_b64 v9, v[7:8]
.LBB54_17:
	s_or_b32 exec_lo, exec_lo, s0
	v_dual_mov_b32 v8, v6 :: v_dual_mov_b32 v7, v5
	s_mov_b32 s0, exec_lo
	s_waitcnt lgkmcnt(0)
	s_barrier
	buffer_gl0_inv
	v_cmpx_gt_u32_e32 15, v0
	s_cbranch_execz .LBB54_19
; %bb.18:
	v_lshl_add_u32 v7, v0, 4, v9
	ds_load_b64 v[7:8], v7
.LBB54_19:
	s_or_b32 exec_lo, exec_lo, s0
	v_cmp_gt_u32_e64 s0, 15, v0
	s_branch .LBB54_28
.LBB54_20:
                                        ; implicit-def: $vgpr7_vgpr8
	v_cmp_gt_u32_e64 s0, 15, v0
	s_cbranch_execz .LBB54_28
; %bb.21:
	v_cmp_lt_u32_e32 vcc_lo, 14, v0
	s_delay_alu instid0(VALU_DEP_2)
	s_and_saveexec_b32 s1, s0
	s_cbranch_execz .LBB54_23
; %bb.22:
	ds_load_2addr_b64 v[10:13], v9 offset1:30
	s_waitcnt lgkmcnt(0)
	v_add_f64 v[7:8], v[12:13], v[10:11]
	ds_store_b64 v9, v[7:8]
.LBB54_23:
	s_or_b32 exec_lo, exec_lo, s1
	s_waitcnt lgkmcnt(0)
	s_barrier
	buffer_gl0_inv
	s_and_saveexec_b32 s0, vcc_lo
	s_delay_alu instid0(SALU_CYCLE_1)
	s_xor_b32 s0, exec_lo, s0
	s_cbranch_execz .LBB54_25
; %bb.24:
	buffer_gl0_inv
                                        ; implicit-def: $vgpr9
.LBB54_25:
	s_and_not1_saveexec_b32 s0, s0
	s_cbranch_execz .LBB54_27
; %bb.26:
	ds_load_2addr_b64 v[5:8], v9 offset1:15
	s_waitcnt lgkmcnt(0)
	v_add_f64 v[5:6], v[7:8], v[5:6]
	ds_store_b64 v9, v[5:6]
	s_waitcnt lgkmcnt(0)
	buffer_gl0_inv
	ds_load_b64 v[5:6], v9
.LBB54_27:
	s_or_b32 exec_lo, exec_lo, s0
	s_waitcnt lgkmcnt(0)
	v_dual_mov_b32 v8, v6 :: v_dual_mov_b32 v7, v5
.LBB54_28:
	v_cmp_gt_u32_e32 vcc_lo, 15, v0
	s_and_b32 exec_lo, exec_lo, vcc_lo
	s_cbranch_execz .LBB54_33
; %bb.29:
	s_waitcnt lgkmcnt(0)
	v_mul_f64 v[3:4], v[3:4], v[7:8]
	s_mov_b32 s0, exec_lo
	v_cmpx_eq_f64_e32 0, v[1:2]
	s_xor_b32 s0, exec_lo, s0
	s_cbranch_execz .LBB54_31
; %bb.30:
	v_mad_u64_u32 v[1:2], null, s8, 15, v[0:1]
	v_mov_b32_e32 v2, 0
	s_delay_alu instid0(VALU_DEP_1) | instskip(NEXT) | instid1(VALU_DEP_1)
	v_lshlrev_b64 v[0:1], 3, v[1:2]
	v_add_co_u32 v0, vcc_lo, s2, v0
	s_delay_alu instid0(VALU_DEP_2)
	v_add_co_ci_u32_e32 v1, vcc_lo, s3, v1, vcc_lo
	global_store_b64 v[0:1], v[3:4], off
                                        ; implicit-def: $vgpr0
                                        ; implicit-def: $vgpr1_vgpr2
                                        ; implicit-def: $vgpr3_vgpr4
.LBB54_31:
	s_and_not1_saveexec_b32 s0, s0
	s_cbranch_execz .LBB54_33
; %bb.32:
	v_mad_u64_u32 v[5:6], null, s8, 15, v[0:1]
	v_mov_b32_e32 v6, 0
	s_delay_alu instid0(VALU_DEP_1) | instskip(NEXT) | instid1(VALU_DEP_1)
	v_lshlrev_b64 v[5:6], 3, v[5:6]
	v_add_co_u32 v5, vcc_lo, s2, v5
	s_delay_alu instid0(VALU_DEP_2)
	v_add_co_ci_u32_e32 v6, vcc_lo, s3, v6, vcc_lo
	global_load_b64 v[7:8], v[5:6], off
	s_waitcnt vmcnt(0)
	v_fma_f64 v[0:1], v[1:2], v[7:8], v[3:4]
	global_store_b64 v[5:6], v[0:1], off
.LBB54_33:
	s_nop 0
	s_sendmsg sendmsg(MSG_DEALLOC_VGPRS)
	s_endpgm
	.section	.rodata,"a",@progbits
	.p2align	6, 0x0
	.amdhsa_kernel _ZN9rocsparseL22gebsrmvn_mxn_16_kernelILj45ELj15ELj3EdEEvi20rocsparse_direction_NS_24const_host_device_scalarIT2_EEPKiS6_PKS3_iiS8_S4_PS3_21rocsparse_index_base_b
		.amdhsa_group_segment_fixed_size 360
		.amdhsa_private_segment_fixed_size 0
		.amdhsa_kernarg_size 80
		.amdhsa_user_sgpr_count 15
		.amdhsa_user_sgpr_dispatch_ptr 0
		.amdhsa_user_sgpr_queue_ptr 0
		.amdhsa_user_sgpr_kernarg_segment_ptr 1
		.amdhsa_user_sgpr_dispatch_id 0
		.amdhsa_user_sgpr_private_segment_size 0
		.amdhsa_wavefront_size32 1
		.amdhsa_uses_dynamic_stack 0
		.amdhsa_enable_private_segment 0
		.amdhsa_system_sgpr_workgroup_id_x 1
		.amdhsa_system_sgpr_workgroup_id_y 0
		.amdhsa_system_sgpr_workgroup_id_z 0
		.amdhsa_system_sgpr_workgroup_info 0
		.amdhsa_system_vgpr_workitem_id 0
		.amdhsa_next_free_vgpr 16
		.amdhsa_next_free_sgpr 16
		.amdhsa_reserve_vcc 1
		.amdhsa_float_round_mode_32 0
		.amdhsa_float_round_mode_16_64 0
		.amdhsa_float_denorm_mode_32 3
		.amdhsa_float_denorm_mode_16_64 3
		.amdhsa_dx10_clamp 1
		.amdhsa_ieee_mode 1
		.amdhsa_fp16_overflow 0
		.amdhsa_workgroup_processor_mode 1
		.amdhsa_memory_ordered 1
		.amdhsa_forward_progress 0
		.amdhsa_shared_vgpr_count 0
		.amdhsa_exception_fp_ieee_invalid_op 0
		.amdhsa_exception_fp_denorm_src 0
		.amdhsa_exception_fp_ieee_div_zero 0
		.amdhsa_exception_fp_ieee_overflow 0
		.amdhsa_exception_fp_ieee_underflow 0
		.amdhsa_exception_fp_ieee_inexact 0
		.amdhsa_exception_int_div_zero 0
	.end_amdhsa_kernel
	.section	.text._ZN9rocsparseL22gebsrmvn_mxn_16_kernelILj45ELj15ELj3EdEEvi20rocsparse_direction_NS_24const_host_device_scalarIT2_EEPKiS6_PKS3_iiS8_S4_PS3_21rocsparse_index_base_b,"axG",@progbits,_ZN9rocsparseL22gebsrmvn_mxn_16_kernelILj45ELj15ELj3EdEEvi20rocsparse_direction_NS_24const_host_device_scalarIT2_EEPKiS6_PKS3_iiS8_S4_PS3_21rocsparse_index_base_b,comdat
.Lfunc_end54:
	.size	_ZN9rocsparseL22gebsrmvn_mxn_16_kernelILj45ELj15ELj3EdEEvi20rocsparse_direction_NS_24const_host_device_scalarIT2_EEPKiS6_PKS3_iiS8_S4_PS3_21rocsparse_index_base_b, .Lfunc_end54-_ZN9rocsparseL22gebsrmvn_mxn_16_kernelILj45ELj15ELj3EdEEvi20rocsparse_direction_NS_24const_host_device_scalarIT2_EEPKiS6_PKS3_iiS8_S4_PS3_21rocsparse_index_base_b
                                        ; -- End function
	.section	.AMDGPU.csdata,"",@progbits
; Kernel info:
; codeLenInByte = 1196
; NumSgprs: 18
; NumVgprs: 16
; ScratchSize: 0
; MemoryBound: 0
; FloatMode: 240
; IeeeMode: 1
; LDSByteSize: 360 bytes/workgroup (compile time only)
; SGPRBlocks: 2
; VGPRBlocks: 1
; NumSGPRsForWavesPerEU: 18
; NumVGPRsForWavesPerEU: 16
; Occupancy: 16
; WaveLimiterHint : 1
; COMPUTE_PGM_RSRC2:SCRATCH_EN: 0
; COMPUTE_PGM_RSRC2:USER_SGPR: 15
; COMPUTE_PGM_RSRC2:TRAP_HANDLER: 0
; COMPUTE_PGM_RSRC2:TGID_X_EN: 1
; COMPUTE_PGM_RSRC2:TGID_Y_EN: 0
; COMPUTE_PGM_RSRC2:TGID_Z_EN: 0
; COMPUTE_PGM_RSRC2:TIDIG_COMP_CNT: 0
	.section	.text._ZN9rocsparseL22gebsrmvn_mxn_16_kernelILj60ELj15ELj4EdEEvi20rocsparse_direction_NS_24const_host_device_scalarIT2_EEPKiS6_PKS3_iiS8_S4_PS3_21rocsparse_index_base_b,"axG",@progbits,_ZN9rocsparseL22gebsrmvn_mxn_16_kernelILj60ELj15ELj4EdEEvi20rocsparse_direction_NS_24const_host_device_scalarIT2_EEPKiS6_PKS3_iiS8_S4_PS3_21rocsparse_index_base_b,comdat
	.globl	_ZN9rocsparseL22gebsrmvn_mxn_16_kernelILj60ELj15ELj4EdEEvi20rocsparse_direction_NS_24const_host_device_scalarIT2_EEPKiS6_PKS3_iiS8_S4_PS3_21rocsparse_index_base_b ; -- Begin function _ZN9rocsparseL22gebsrmvn_mxn_16_kernelILj60ELj15ELj4EdEEvi20rocsparse_direction_NS_24const_host_device_scalarIT2_EEPKiS6_PKS3_iiS8_S4_PS3_21rocsparse_index_base_b
	.p2align	8
	.type	_ZN9rocsparseL22gebsrmvn_mxn_16_kernelILj60ELj15ELj4EdEEvi20rocsparse_direction_NS_24const_host_device_scalarIT2_EEPKiS6_PKS3_iiS8_S4_PS3_21rocsparse_index_base_b,@function
_ZN9rocsparseL22gebsrmvn_mxn_16_kernelILj60ELj15ELj4EdEEvi20rocsparse_direction_NS_24const_host_device_scalarIT2_EEPKiS6_PKS3_iiS8_S4_PS3_21rocsparse_index_base_b: ; @_ZN9rocsparseL22gebsrmvn_mxn_16_kernelILj60ELj15ELj4EdEEvi20rocsparse_direction_NS_24const_host_device_scalarIT2_EEPKiS6_PKS3_iiS8_S4_PS3_21rocsparse_index_base_b
; %bb.0:
	s_clause 0x2
	s_load_b64 s[10:11], s[0:1], 0x48
	s_load_b64 s[4:5], s[0:1], 0x8
	;; [unrolled: 1-line block ×3, first 2 shown]
	s_mov_b32 s8, s15
	s_waitcnt lgkmcnt(0)
	s_bitcmp1_b32 s11, 0
	v_dual_mov_b32 v3, s4 :: v_dual_mov_b32 v4, s5
	s_cselect_b32 s6, -1, 0
	s_delay_alu instid0(SALU_CYCLE_1)
	s_and_b32 vcc_lo, exec_lo, s6
	s_xor_b32 s6, s6, -1
	s_cbranch_vccnz .LBB55_2
; %bb.1:
	v_dual_mov_b32 v1, s4 :: v_dual_mov_b32 v2, s5
	flat_load_b64 v[3:4], v[1:2]
.LBB55_2:
	v_dual_mov_b32 v1, s2 :: v_dual_mov_b32 v2, s3
	s_and_not1_b32 vcc_lo, exec_lo, s6
	s_cbranch_vccnz .LBB55_4
; %bb.3:
	v_dual_mov_b32 v1, s2 :: v_dual_mov_b32 v2, s3
	flat_load_b64 v[1:2], v[1:2]
.LBB55_4:
	s_waitcnt vmcnt(0) lgkmcnt(0)
	v_cmp_neq_f64_e32 vcc_lo, 0, v[3:4]
	v_cmp_neq_f64_e64 s2, 1.0, v[1:2]
	s_delay_alu instid0(VALU_DEP_1) | instskip(NEXT) | instid1(SALU_CYCLE_1)
	s_or_b32 s2, vcc_lo, s2
	s_and_saveexec_b32 s3, s2
	s_cbranch_execz .LBB55_33
; %bb.5:
	s_clause 0x1
	s_load_b32 s4, s[0:1], 0x4
	s_load_b64 s[2:3], s[0:1], 0x10
	v_and_b32_e32 v11, 3, v0
	s_delay_alu instid0(VALU_DEP_1) | instskip(SKIP_3) | instid1(SALU_CYCLE_1)
	v_mov_b32_e32 v12, v11
	s_waitcnt lgkmcnt(0)
	s_cmp_lg_u32 s4, 1
	s_cselect_b32 s11, -1, 0
	s_and_b32 vcc_lo, exec_lo, s11
	s_cbranch_vccnz .LBB55_7
; %bb.6:
	v_mul_u32_u24_e32 v5, 0x1112, v0
	s_delay_alu instid0(VALU_DEP_1)
	v_bfe_u32 v12, v5, 16, 2
.LBB55_7:
	s_ashr_i32 s9, s8, 31
	v_mov_b32_e32 v5, 0
	s_lshl_b64 s[4:5], s[8:9], 2
	v_mov_b32_e32 v6, 0
	s_add_u32 s2, s2, s4
	s_addc_u32 s3, s3, s5
	s_load_b64 s[12:13], s[2:3], 0x0
	s_load_b64 s[2:3], s[0:1], 0x40
	s_waitcnt lgkmcnt(0)
	s_cmp_ge_i32 s12, s13
	s_cbranch_scc1 .LBB55_12
; %bb.8:
	s_clause 0x1
	s_load_b128 s[4:7], s[0:1], 0x18
	s_load_b64 s[0:1], s[0:1], 0x30
	v_mad_u64_u32 v[5:6], null, s12, 60, v[0:1]
	v_mul_u32_u24_e32 v6, 0x445, v0
	s_mul_i32 s9, s10, 60
	s_sub_i32 s12, s12, s10
	v_mov_b32_e32 v8, 0
	s_delay_alu instid0(VALU_DEP_2) | instskip(NEXT) | instid1(VALU_DEP_4)
	v_lshrrev_b32_e32 v13, 16, v6
	v_subrev_nc_u32_e32 v7, s9, v5
	v_mov_b32_e32 v5, 0
	v_mov_b32_e32 v6, 0
	s_sub_i32 s9, s13, s10
	s_set_inst_prefetch_distance 0x1
	s_branch .LBB55_10
	.p2align	6
.LBB55_9:                               ;   in Loop: Header=BB55_10 Depth=1
	s_or_b32 exec_lo, exec_lo, s13
	v_add_nc_u32_e32 v7, 60, v7
	s_add_i32 s12, s12, 1
	s_delay_alu instid0(SALU_CYCLE_1)
	s_cmp_ge_i32 s12, s9
	s_cbranch_scc1 .LBB55_12
.LBB55_10:                              ; =>This Inner Loop Header: Depth=1
	v_add_nc_u32_e32 v9, s12, v13
	s_mov_b32 s13, exec_lo
	s_delay_alu instid0(VALU_DEP_1)
	v_cmpx_gt_i32_e64 s9, v9
	s_cbranch_execz .LBB55_9
; %bb.11:                               ;   in Loop: Header=BB55_10 Depth=1
	v_ashrrev_i32_e32 v10, 31, v9
	v_lshlrev_b64 v[14:15], 3, v[7:8]
	s_delay_alu instid0(VALU_DEP_2) | instskip(SKIP_1) | instid1(VALU_DEP_1)
	v_lshlrev_b64 v[9:10], 2, v[9:10]
	s_waitcnt lgkmcnt(0)
	v_add_co_u32 v9, vcc_lo, s4, v9
	s_delay_alu instid0(VALU_DEP_2) | instskip(NEXT) | instid1(VALU_DEP_4)
	v_add_co_ci_u32_e32 v10, vcc_lo, s5, v10, vcc_lo
	v_add_co_u32 v14, vcc_lo, s6, v14
	v_add_co_ci_u32_e32 v15, vcc_lo, s7, v15, vcc_lo
	global_load_b32 v9, v[9:10], off
	s_waitcnt vmcnt(0)
	v_subrev_nc_u32_e32 v9, s10, v9
	s_delay_alu instid0(VALU_DEP_1) | instskip(NEXT) | instid1(VALU_DEP_1)
	v_lshl_or_b32 v9, v9, 2, v12
	v_ashrrev_i32_e32 v10, 31, v9
	s_delay_alu instid0(VALU_DEP_1) | instskip(NEXT) | instid1(VALU_DEP_1)
	v_lshlrev_b64 v[9:10], 3, v[9:10]
	v_add_co_u32 v9, vcc_lo, s0, v9
	s_delay_alu instid0(VALU_DEP_2)
	v_add_co_ci_u32_e32 v10, vcc_lo, s1, v10, vcc_lo
	global_load_b64 v[14:15], v[14:15], off
	global_load_b64 v[9:10], v[9:10], off
	s_waitcnt vmcnt(0)
	v_fma_f64 v[5:6], v[14:15], v[9:10], v[5:6]
	s_branch .LBB55_9
.LBB55_12:
	s_set_inst_prefetch_distance 0x2
	v_lshlrev_b32_e32 v9, 3, v0
	s_and_b32 vcc_lo, exec_lo, s11
	ds_store_b64 v9, v[5:6]
	s_waitcnt lgkmcnt(0)
	s_barrier
	buffer_gl0_inv
	s_cbranch_vccz .LBB55_20
; %bb.13:
	s_mov_b32 s0, exec_lo
	v_cmpx_gt_u32_e32 2, v11
	s_cbranch_execz .LBB55_15
; %bb.14:
	ds_load_2addr_b64 v[12:15], v9 offset1:2
	s_waitcnt lgkmcnt(0)
	v_add_f64 v[7:8], v[14:15], v[12:13]
	ds_store_b64 v9, v[7:8]
.LBB55_15:
	s_or_b32 exec_lo, exec_lo, s0
	s_delay_alu instid0(SALU_CYCLE_1)
	s_mov_b32 s0, exec_lo
	s_waitcnt lgkmcnt(0)
	s_barrier
	buffer_gl0_inv
	v_cmpx_eq_u32_e32 0, v11
	s_cbranch_execz .LBB55_17
; %bb.16:
	ds_load_2addr_b64 v[10:13], v9 offset1:1
	s_waitcnt lgkmcnt(0)
	v_add_f64 v[7:8], v[12:13], v[10:11]
	ds_store_b64 v9, v[7:8]
.LBB55_17:
	s_or_b32 exec_lo, exec_lo, s0
	v_dual_mov_b32 v8, v6 :: v_dual_mov_b32 v7, v5
	s_mov_b32 s0, exec_lo
	s_waitcnt lgkmcnt(0)
	s_barrier
	buffer_gl0_inv
	v_cmpx_gt_u32_e32 15, v0
	s_cbranch_execz .LBB55_19
; %bb.18:
	v_mad_u32_u24 v7, v0, 24, v9
	ds_load_b64 v[7:8], v7
.LBB55_19:
	s_or_b32 exec_lo, exec_lo, s0
	s_branch .LBB55_28
.LBB55_20:
                                        ; implicit-def: $vgpr7_vgpr8
	s_cbranch_execz .LBB55_28
; %bb.21:
	s_mov_b32 s0, exec_lo
	v_cmpx_gt_u32_e32 30, v0
	s_cbranch_execz .LBB55_23
; %bb.22:
	ds_load_2addr_b64 v[10:13], v9 offset1:30
	s_waitcnt lgkmcnt(0)
	v_add_f64 v[7:8], v[12:13], v[10:11]
	ds_store_b64 v9, v[7:8]
.LBB55_23:
	s_or_b32 exec_lo, exec_lo, s0
	s_delay_alu instid0(SALU_CYCLE_1)
	s_mov_b32 s0, exec_lo
	s_waitcnt lgkmcnt(0)
	buffer_gl0_inv
	v_cmpx_lt_u32_e32 14, v0
	s_xor_b32 s0, exec_lo, s0
	s_cbranch_execz .LBB55_25
; %bb.24:
	buffer_gl0_inv
                                        ; implicit-def: $vgpr9
.LBB55_25:
	s_and_not1_saveexec_b32 s0, s0
	s_cbranch_execz .LBB55_27
; %bb.26:
	ds_load_2addr_b64 v[5:8], v9 offset1:15
	s_waitcnt lgkmcnt(0)
	v_add_f64 v[5:6], v[7:8], v[5:6]
	ds_store_b64 v9, v[5:6]
	s_waitcnt lgkmcnt(0)
	buffer_gl0_inv
	ds_load_b64 v[5:6], v9
.LBB55_27:
	s_or_b32 exec_lo, exec_lo, s0
	s_waitcnt lgkmcnt(0)
	v_dual_mov_b32 v8, v6 :: v_dual_mov_b32 v7, v5
.LBB55_28:
	v_cmp_gt_u32_e32 vcc_lo, 15, v0
	s_and_b32 exec_lo, exec_lo, vcc_lo
	s_cbranch_execz .LBB55_33
; %bb.29:
	s_waitcnt lgkmcnt(0)
	v_mul_f64 v[3:4], v[3:4], v[7:8]
	s_mov_b32 s0, exec_lo
	v_cmpx_eq_f64_e32 0, v[1:2]
	s_xor_b32 s0, exec_lo, s0
	s_cbranch_execz .LBB55_31
; %bb.30:
	v_mad_u64_u32 v[1:2], null, s8, 15, v[0:1]
	v_mov_b32_e32 v2, 0
	s_delay_alu instid0(VALU_DEP_1) | instskip(NEXT) | instid1(VALU_DEP_1)
	v_lshlrev_b64 v[0:1], 3, v[1:2]
	v_add_co_u32 v0, vcc_lo, s2, v0
	s_delay_alu instid0(VALU_DEP_2)
	v_add_co_ci_u32_e32 v1, vcc_lo, s3, v1, vcc_lo
	global_store_b64 v[0:1], v[3:4], off
                                        ; implicit-def: $vgpr0
                                        ; implicit-def: $vgpr1_vgpr2
                                        ; implicit-def: $vgpr3_vgpr4
.LBB55_31:
	s_and_not1_saveexec_b32 s0, s0
	s_cbranch_execz .LBB55_33
; %bb.32:
	v_mad_u64_u32 v[5:6], null, s8, 15, v[0:1]
	v_mov_b32_e32 v6, 0
	s_delay_alu instid0(VALU_DEP_1) | instskip(NEXT) | instid1(VALU_DEP_1)
	v_lshlrev_b64 v[5:6], 3, v[5:6]
	v_add_co_u32 v5, vcc_lo, s2, v5
	s_delay_alu instid0(VALU_DEP_2)
	v_add_co_ci_u32_e32 v6, vcc_lo, s3, v6, vcc_lo
	global_load_b64 v[7:8], v[5:6], off
	s_waitcnt vmcnt(0)
	v_fma_f64 v[0:1], v[1:2], v[7:8], v[3:4]
	global_store_b64 v[5:6], v[0:1], off
.LBB55_33:
	s_nop 0
	s_sendmsg sendmsg(MSG_DEALLOC_VGPRS)
	s_endpgm
	.section	.rodata,"a",@progbits
	.p2align	6, 0x0
	.amdhsa_kernel _ZN9rocsparseL22gebsrmvn_mxn_16_kernelILj60ELj15ELj4EdEEvi20rocsparse_direction_NS_24const_host_device_scalarIT2_EEPKiS6_PKS3_iiS8_S4_PS3_21rocsparse_index_base_b
		.amdhsa_group_segment_fixed_size 480
		.amdhsa_private_segment_fixed_size 0
		.amdhsa_kernarg_size 80
		.amdhsa_user_sgpr_count 15
		.amdhsa_user_sgpr_dispatch_ptr 0
		.amdhsa_user_sgpr_queue_ptr 0
		.amdhsa_user_sgpr_kernarg_segment_ptr 1
		.amdhsa_user_sgpr_dispatch_id 0
		.amdhsa_user_sgpr_private_segment_size 0
		.amdhsa_wavefront_size32 1
		.amdhsa_uses_dynamic_stack 0
		.amdhsa_enable_private_segment 0
		.amdhsa_system_sgpr_workgroup_id_x 1
		.amdhsa_system_sgpr_workgroup_id_y 0
		.amdhsa_system_sgpr_workgroup_id_z 0
		.amdhsa_system_sgpr_workgroup_info 0
		.amdhsa_system_vgpr_workitem_id 0
		.amdhsa_next_free_vgpr 16
		.amdhsa_next_free_sgpr 16
		.amdhsa_reserve_vcc 1
		.amdhsa_float_round_mode_32 0
		.amdhsa_float_round_mode_16_64 0
		.amdhsa_float_denorm_mode_32 3
		.amdhsa_float_denorm_mode_16_64 3
		.amdhsa_dx10_clamp 1
		.amdhsa_ieee_mode 1
		.amdhsa_fp16_overflow 0
		.amdhsa_workgroup_processor_mode 1
		.amdhsa_memory_ordered 1
		.amdhsa_forward_progress 0
		.amdhsa_shared_vgpr_count 0
		.amdhsa_exception_fp_ieee_invalid_op 0
		.amdhsa_exception_fp_denorm_src 0
		.amdhsa_exception_fp_ieee_div_zero 0
		.amdhsa_exception_fp_ieee_overflow 0
		.amdhsa_exception_fp_ieee_underflow 0
		.amdhsa_exception_fp_ieee_inexact 0
		.amdhsa_exception_int_div_zero 0
	.end_amdhsa_kernel
	.section	.text._ZN9rocsparseL22gebsrmvn_mxn_16_kernelILj60ELj15ELj4EdEEvi20rocsparse_direction_NS_24const_host_device_scalarIT2_EEPKiS6_PKS3_iiS8_S4_PS3_21rocsparse_index_base_b,"axG",@progbits,_ZN9rocsparseL22gebsrmvn_mxn_16_kernelILj60ELj15ELj4EdEEvi20rocsparse_direction_NS_24const_host_device_scalarIT2_EEPKiS6_PKS3_iiS8_S4_PS3_21rocsparse_index_base_b,comdat
.Lfunc_end55:
	.size	_ZN9rocsparseL22gebsrmvn_mxn_16_kernelILj60ELj15ELj4EdEEvi20rocsparse_direction_NS_24const_host_device_scalarIT2_EEPKiS6_PKS3_iiS8_S4_PS3_21rocsparse_index_base_b, .Lfunc_end55-_ZN9rocsparseL22gebsrmvn_mxn_16_kernelILj60ELj15ELj4EdEEvi20rocsparse_direction_NS_24const_host_device_scalarIT2_EEPKiS6_PKS3_iiS8_S4_PS3_21rocsparse_index_base_b
                                        ; -- End function
	.section	.AMDGPU.csdata,"",@progbits
; Kernel info:
; codeLenInByte = 1092
; NumSgprs: 18
; NumVgprs: 16
; ScratchSize: 0
; MemoryBound: 0
; FloatMode: 240
; IeeeMode: 1
; LDSByteSize: 480 bytes/workgroup (compile time only)
; SGPRBlocks: 2
; VGPRBlocks: 1
; NumSGPRsForWavesPerEU: 18
; NumVGPRsForWavesPerEU: 16
; Occupancy: 16
; WaveLimiterHint : 1
; COMPUTE_PGM_RSRC2:SCRATCH_EN: 0
; COMPUTE_PGM_RSRC2:USER_SGPR: 15
; COMPUTE_PGM_RSRC2:TRAP_HANDLER: 0
; COMPUTE_PGM_RSRC2:TGID_X_EN: 1
; COMPUTE_PGM_RSRC2:TGID_Y_EN: 0
; COMPUTE_PGM_RSRC2:TGID_Z_EN: 0
; COMPUTE_PGM_RSRC2:TIDIG_COMP_CNT: 0
	.section	.text._ZN9rocsparseL22gebsrmvn_mxn_16_kernelILj75ELj15ELj5EdEEvi20rocsparse_direction_NS_24const_host_device_scalarIT2_EEPKiS6_PKS3_iiS8_S4_PS3_21rocsparse_index_base_b,"axG",@progbits,_ZN9rocsparseL22gebsrmvn_mxn_16_kernelILj75ELj15ELj5EdEEvi20rocsparse_direction_NS_24const_host_device_scalarIT2_EEPKiS6_PKS3_iiS8_S4_PS3_21rocsparse_index_base_b,comdat
	.globl	_ZN9rocsparseL22gebsrmvn_mxn_16_kernelILj75ELj15ELj5EdEEvi20rocsparse_direction_NS_24const_host_device_scalarIT2_EEPKiS6_PKS3_iiS8_S4_PS3_21rocsparse_index_base_b ; -- Begin function _ZN9rocsparseL22gebsrmvn_mxn_16_kernelILj75ELj15ELj5EdEEvi20rocsparse_direction_NS_24const_host_device_scalarIT2_EEPKiS6_PKS3_iiS8_S4_PS3_21rocsparse_index_base_b
	.p2align	8
	.type	_ZN9rocsparseL22gebsrmvn_mxn_16_kernelILj75ELj15ELj5EdEEvi20rocsparse_direction_NS_24const_host_device_scalarIT2_EEPKiS6_PKS3_iiS8_S4_PS3_21rocsparse_index_base_b,@function
_ZN9rocsparseL22gebsrmvn_mxn_16_kernelILj75ELj15ELj5EdEEvi20rocsparse_direction_NS_24const_host_device_scalarIT2_EEPKiS6_PKS3_iiS8_S4_PS3_21rocsparse_index_base_b: ; @_ZN9rocsparseL22gebsrmvn_mxn_16_kernelILj75ELj15ELj5EdEEvi20rocsparse_direction_NS_24const_host_device_scalarIT2_EEPKiS6_PKS3_iiS8_S4_PS3_21rocsparse_index_base_b
; %bb.0:
	s_clause 0x2
	s_load_b64 s[10:11], s[0:1], 0x48
	s_load_b64 s[4:5], s[0:1], 0x8
	;; [unrolled: 1-line block ×3, first 2 shown]
	s_mov_b32 s8, s15
	s_waitcnt lgkmcnt(0)
	s_bitcmp1_b32 s11, 0
	v_dual_mov_b32 v3, s4 :: v_dual_mov_b32 v4, s5
	s_cselect_b32 s6, -1, 0
	s_delay_alu instid0(SALU_CYCLE_1)
	s_and_b32 vcc_lo, exec_lo, s6
	s_xor_b32 s6, s6, -1
	s_cbranch_vccnz .LBB56_2
; %bb.1:
	v_dual_mov_b32 v1, s4 :: v_dual_mov_b32 v2, s5
	flat_load_b64 v[3:4], v[1:2]
.LBB56_2:
	v_dual_mov_b32 v1, s2 :: v_dual_mov_b32 v2, s3
	s_and_not1_b32 vcc_lo, exec_lo, s6
	s_cbranch_vccnz .LBB56_4
; %bb.3:
	v_dual_mov_b32 v1, s2 :: v_dual_mov_b32 v2, s3
	flat_load_b64 v[1:2], v[1:2]
.LBB56_4:
	s_waitcnt vmcnt(0) lgkmcnt(0)
	v_cmp_neq_f64_e32 vcc_lo, 0, v[3:4]
	v_cmp_neq_f64_e64 s2, 1.0, v[1:2]
	s_delay_alu instid0(VALU_DEP_1) | instskip(NEXT) | instid1(SALU_CYCLE_1)
	s_or_b32 s2, vcc_lo, s2
	s_and_saveexec_b32 s3, s2
	s_cbranch_execz .LBB56_37
; %bb.5:
	v_mul_u32_u24_e32 v5, 0x3334, v0
	s_clause 0x1
	s_load_b32 s4, s[0:1], 0x4
	s_load_b64 s[2:3], s[0:1], 0x10
	s_delay_alu instid0(VALU_DEP_1) | instskip(NEXT) | instid1(VALU_DEP_1)
	v_lshrrev_b32_e32 v5, 16, v5
	v_mul_lo_u16 v5, v5, 5
	s_delay_alu instid0(VALU_DEP_1) | instskip(NEXT) | instid1(VALU_DEP_1)
	v_sub_nc_u16 v5, v0, v5
	v_and_b32_e32 v12, 0xffff, v5
	s_waitcnt lgkmcnt(0)
	s_cmp_lg_u32 s4, 1
	v_and_b32_e32 v8, 0xffff, v0
	s_cselect_b32 s11, -1, 0
	v_mov_b32_e32 v7, v12
	s_and_b32 vcc_lo, exec_lo, s11
	s_cbranch_vccnz .LBB56_7
; %bb.6:
	v_mul_u32_u24_e32 v5, 0x1112, v8
	s_delay_alu instid0(VALU_DEP_1) | instskip(NEXT) | instid1(VALU_DEP_1)
	v_lshrrev_b32_e32 v5, 16, v5
	v_mul_lo_u16 v6, v5, 52
	s_delay_alu instid0(VALU_DEP_1) | instskip(NEXT) | instid1(VALU_DEP_1)
	v_lshrrev_b16 v6, 8, v6
	v_mul_lo_u16 v6, v6, 5
	s_delay_alu instid0(VALU_DEP_1) | instskip(NEXT) | instid1(VALU_DEP_1)
	v_sub_nc_u16 v5, v5, v6
	v_and_b32_e32 v7, 0xff, v5
.LBB56_7:
	s_ashr_i32 s9, s8, 31
	v_mov_b32_e32 v5, 0
	s_lshl_b64 s[4:5], s[8:9], 2
	v_mov_b32_e32 v6, 0
	s_add_u32 s2, s2, s4
	s_addc_u32 s3, s3, s5
	s_load_b64 s[12:13], s[2:3], 0x0
	s_load_b64 s[2:3], s[0:1], 0x40
	s_waitcnt lgkmcnt(0)
	s_cmp_ge_i32 s12, s13
	s_cbranch_scc1 .LBB56_12
; %bb.8:
	s_clause 0x1
	s_load_b128 s[4:7], s[0:1], 0x18
	s_load_b64 s[0:1], s[0:1], 0x30
	v_mad_u64_u32 v[5:6], null, 0x4b, s12, v[0:1]
	v_mul_u32_u24_e32 v6, 0x36a, v8
	s_mul_i32 s9, s10, 0x4b
	s_sub_i32 s12, s12, s10
	v_mov_b32_e32 v9, 0
	s_delay_alu instid0(VALU_DEP_2) | instskip(NEXT) | instid1(VALU_DEP_4)
	v_lshrrev_b32_e32 v13, 16, v6
	v_subrev_nc_u32_e32 v8, s9, v5
	v_mov_b32_e32 v5, 0
	v_mov_b32_e32 v6, 0
	s_sub_i32 s9, s13, s10
	s_set_inst_prefetch_distance 0x1
	s_branch .LBB56_10
	.p2align	6
.LBB56_9:                               ;   in Loop: Header=BB56_10 Depth=1
	s_or_b32 exec_lo, exec_lo, s13
	v_add_nc_u32_e32 v8, 0x4b, v8
	s_add_i32 s12, s12, 1
	s_delay_alu instid0(SALU_CYCLE_1)
	s_cmp_ge_i32 s12, s9
	s_cbranch_scc1 .LBB56_12
.LBB56_10:                              ; =>This Inner Loop Header: Depth=1
	v_add_nc_u32_e32 v10, s12, v13
	s_mov_b32 s13, exec_lo
	s_delay_alu instid0(VALU_DEP_1)
	v_cmpx_gt_i32_e64 s9, v10
	s_cbranch_execz .LBB56_9
; %bb.11:                               ;   in Loop: Header=BB56_10 Depth=1
	v_ashrrev_i32_e32 v11, 31, v10
	s_delay_alu instid0(VALU_DEP_1) | instskip(SKIP_1) | instid1(VALU_DEP_1)
	v_lshlrev_b64 v[10:11], 2, v[10:11]
	s_waitcnt lgkmcnt(0)
	v_add_co_u32 v10, vcc_lo, s4, v10
	s_delay_alu instid0(VALU_DEP_2) | instskip(SKIP_3) | instid1(VALU_DEP_1)
	v_add_co_ci_u32_e32 v11, vcc_lo, s5, v11, vcc_lo
	global_load_b32 v10, v[10:11], off
	s_waitcnt vmcnt(0)
	v_subrev_nc_u32_e32 v14, s10, v10
	v_mad_u64_u32 v[10:11], null, v14, 5, v[7:8]
	v_lshlrev_b64 v[14:15], 3, v[8:9]
	s_delay_alu instid0(VALU_DEP_1) | instskip(NEXT) | instid1(VALU_DEP_3)
	v_add_co_u32 v14, vcc_lo, s6, v14
	v_ashrrev_i32_e32 v11, 31, v10
	s_delay_alu instid0(VALU_DEP_3) | instskip(NEXT) | instid1(VALU_DEP_2)
	v_add_co_ci_u32_e32 v15, vcc_lo, s7, v15, vcc_lo
	v_lshlrev_b64 v[10:11], 3, v[10:11]
	s_delay_alu instid0(VALU_DEP_1) | instskip(NEXT) | instid1(VALU_DEP_2)
	v_add_co_u32 v10, vcc_lo, s0, v10
	v_add_co_ci_u32_e32 v11, vcc_lo, s1, v11, vcc_lo
	global_load_b64 v[14:15], v[14:15], off
	global_load_b64 v[10:11], v[10:11], off
	s_waitcnt vmcnt(0)
	v_fma_f64 v[5:6], v[14:15], v[10:11], v[5:6]
	s_branch .LBB56_9
.LBB56_12:
	s_set_inst_prefetch_distance 0x2
	v_lshlrev_b32_e32 v9, 3, v0
	s_and_b32 vcc_lo, exec_lo, s11
	ds_store_b64 v9, v[5:6]
	s_waitcnt lgkmcnt(0)
	s_barrier
	buffer_gl0_inv
	s_cbranch_vccz .LBB56_22
; %bb.13:
	v_cmp_eq_u16_e32 vcc_lo, 0, v12
	s_and_saveexec_b32 s0, vcc_lo
	s_cbranch_execz .LBB56_15
; %bb.14:
	ds_load_2addr_b64 v[13:16], v9 offset1:4
	s_waitcnt lgkmcnt(0)
	v_add_f64 v[7:8], v[15:16], v[13:14]
	ds_store_b64 v9, v[7:8]
.LBB56_15:
	s_or_b32 exec_lo, exec_lo, s0
	s_delay_alu instid0(SALU_CYCLE_1)
	s_mov_b32 s1, exec_lo
	s_waitcnt lgkmcnt(0)
	s_barrier
	buffer_gl0_inv
	v_cmpx_gt_u16_e32 2, v12
	s_cbranch_execz .LBB56_17
; %bb.16:
	ds_load_2addr_b64 v[10:13], v9 offset1:2
	s_waitcnt lgkmcnt(0)
	v_add_f64 v[7:8], v[12:13], v[10:11]
	ds_store_b64 v9, v[7:8]
.LBB56_17:
	s_or_b32 exec_lo, exec_lo, s1
	s_waitcnt lgkmcnt(0)
	s_barrier
	buffer_gl0_inv
	s_and_saveexec_b32 s0, vcc_lo
	s_cbranch_execz .LBB56_19
; %bb.18:
	ds_load_2addr_b64 v[10:13], v9 offset1:1
	s_waitcnt lgkmcnt(0)
	v_add_f64 v[7:8], v[12:13], v[10:11]
	ds_store_b64 v9, v[7:8]
.LBB56_19:
	s_or_b32 exec_lo, exec_lo, s0
	v_dual_mov_b32 v8, v6 :: v_dual_mov_b32 v7, v5
	s_mov_b32 s0, exec_lo
	s_waitcnt lgkmcnt(0)
	s_barrier
	buffer_gl0_inv
	v_cmpx_gt_u32_e32 15, v0
	s_cbranch_execz .LBB56_21
; %bb.20:
	v_lshl_add_u32 v7, v0, 5, v9
	ds_load_b64 v[7:8], v7
.LBB56_21:
	s_or_b32 exec_lo, exec_lo, s0
	v_cmp_gt_u32_e64 s0, 15, v0
	s_branch .LBB56_32
.LBB56_22:
                                        ; implicit-def: $vgpr7_vgpr8
	v_cmp_gt_u32_e64 s0, 15, v0
	s_cbranch_execz .LBB56_32
; %bb.23:
	v_cmp_lt_u32_e32 vcc_lo, 14, v0
	s_delay_alu instid0(VALU_DEP_2)
	s_and_saveexec_b32 s1, s0
	s_cbranch_execz .LBB56_25
; %bb.24:
	ds_load_2addr_b64 v[10:13], v9 offset1:60
	s_waitcnt lgkmcnt(0)
	v_add_f64 v[7:8], v[12:13], v[10:11]
	ds_store_b64 v9, v[7:8]
.LBB56_25:
	s_or_b32 exec_lo, exec_lo, s1
	s_delay_alu instid0(SALU_CYCLE_1)
	s_mov_b32 s1, exec_lo
	s_waitcnt lgkmcnt(0)
	s_barrier
	buffer_gl0_inv
	v_cmpx_gt_u32_e32 30, v0
	s_cbranch_execz .LBB56_27
; %bb.26:
	ds_load_2addr_b64 v[10:13], v9 offset1:30
	s_waitcnt lgkmcnt(0)
	v_add_f64 v[7:8], v[12:13], v[10:11]
	ds_store_b64 v9, v[7:8]
.LBB56_27:
	s_or_b32 exec_lo, exec_lo, s1
	s_waitcnt lgkmcnt(0)
	buffer_gl0_inv
	s_and_saveexec_b32 s0, vcc_lo
	s_delay_alu instid0(SALU_CYCLE_1)
	s_xor_b32 s0, exec_lo, s0
	s_cbranch_execz .LBB56_29
; %bb.28:
	buffer_gl0_inv
                                        ; implicit-def: $vgpr9
.LBB56_29:
	s_and_not1_saveexec_b32 s0, s0
	s_cbranch_execz .LBB56_31
; %bb.30:
	ds_load_2addr_b64 v[5:8], v9 offset1:15
	s_waitcnt lgkmcnt(0)
	v_add_f64 v[5:6], v[7:8], v[5:6]
	ds_store_b64 v9, v[5:6]
	s_waitcnt lgkmcnt(0)
	buffer_gl0_inv
	ds_load_b64 v[5:6], v9
.LBB56_31:
	s_or_b32 exec_lo, exec_lo, s0
	s_waitcnt lgkmcnt(0)
	v_dual_mov_b32 v8, v6 :: v_dual_mov_b32 v7, v5
.LBB56_32:
	v_cmp_gt_u32_e32 vcc_lo, 15, v0
	s_and_b32 exec_lo, exec_lo, vcc_lo
	s_cbranch_execz .LBB56_37
; %bb.33:
	s_waitcnt lgkmcnt(0)
	v_mul_f64 v[3:4], v[3:4], v[7:8]
	s_mov_b32 s0, exec_lo
	v_cmpx_eq_f64_e32 0, v[1:2]
	s_xor_b32 s0, exec_lo, s0
	s_cbranch_execz .LBB56_35
; %bb.34:
	v_mad_u64_u32 v[1:2], null, s8, 15, v[0:1]
	v_mov_b32_e32 v2, 0
	s_delay_alu instid0(VALU_DEP_1) | instskip(NEXT) | instid1(VALU_DEP_1)
	v_lshlrev_b64 v[0:1], 3, v[1:2]
	v_add_co_u32 v0, vcc_lo, s2, v0
	s_delay_alu instid0(VALU_DEP_2)
	v_add_co_ci_u32_e32 v1, vcc_lo, s3, v1, vcc_lo
	global_store_b64 v[0:1], v[3:4], off
                                        ; implicit-def: $vgpr0
                                        ; implicit-def: $vgpr1_vgpr2
                                        ; implicit-def: $vgpr3_vgpr4
.LBB56_35:
	s_and_not1_saveexec_b32 s0, s0
	s_cbranch_execz .LBB56_37
; %bb.36:
	v_mad_u64_u32 v[5:6], null, s8, 15, v[0:1]
	v_mov_b32_e32 v6, 0
	s_delay_alu instid0(VALU_DEP_1) | instskip(NEXT) | instid1(VALU_DEP_1)
	v_lshlrev_b64 v[5:6], 3, v[5:6]
	v_add_co_u32 v5, vcc_lo, s2, v5
	s_delay_alu instid0(VALU_DEP_2)
	v_add_co_ci_u32_e32 v6, vcc_lo, s3, v6, vcc_lo
	global_load_b64 v[7:8], v[5:6], off
	s_waitcnt vmcnt(0)
	v_fma_f64 v[0:1], v[1:2], v[7:8], v[3:4]
	global_store_b64 v[5:6], v[0:1], off
.LBB56_37:
	s_nop 0
	s_sendmsg sendmsg(MSG_DEALLOC_VGPRS)
	s_endpgm
	.section	.rodata,"a",@progbits
	.p2align	6, 0x0
	.amdhsa_kernel _ZN9rocsparseL22gebsrmvn_mxn_16_kernelILj75ELj15ELj5EdEEvi20rocsparse_direction_NS_24const_host_device_scalarIT2_EEPKiS6_PKS3_iiS8_S4_PS3_21rocsparse_index_base_b
		.amdhsa_group_segment_fixed_size 600
		.amdhsa_private_segment_fixed_size 0
		.amdhsa_kernarg_size 80
		.amdhsa_user_sgpr_count 15
		.amdhsa_user_sgpr_dispatch_ptr 0
		.amdhsa_user_sgpr_queue_ptr 0
		.amdhsa_user_sgpr_kernarg_segment_ptr 1
		.amdhsa_user_sgpr_dispatch_id 0
		.amdhsa_user_sgpr_private_segment_size 0
		.amdhsa_wavefront_size32 1
		.amdhsa_uses_dynamic_stack 0
		.amdhsa_enable_private_segment 0
		.amdhsa_system_sgpr_workgroup_id_x 1
		.amdhsa_system_sgpr_workgroup_id_y 0
		.amdhsa_system_sgpr_workgroup_id_z 0
		.amdhsa_system_sgpr_workgroup_info 0
		.amdhsa_system_vgpr_workitem_id 0
		.amdhsa_next_free_vgpr 17
		.amdhsa_next_free_sgpr 16
		.amdhsa_reserve_vcc 1
		.amdhsa_float_round_mode_32 0
		.amdhsa_float_round_mode_16_64 0
		.amdhsa_float_denorm_mode_32 3
		.amdhsa_float_denorm_mode_16_64 3
		.amdhsa_dx10_clamp 1
		.amdhsa_ieee_mode 1
		.amdhsa_fp16_overflow 0
		.amdhsa_workgroup_processor_mode 1
		.amdhsa_memory_ordered 1
		.amdhsa_forward_progress 0
		.amdhsa_shared_vgpr_count 0
		.amdhsa_exception_fp_ieee_invalid_op 0
		.amdhsa_exception_fp_denorm_src 0
		.amdhsa_exception_fp_ieee_div_zero 0
		.amdhsa_exception_fp_ieee_overflow 0
		.amdhsa_exception_fp_ieee_underflow 0
		.amdhsa_exception_fp_ieee_inexact 0
		.amdhsa_exception_int_div_zero 0
	.end_amdhsa_kernel
	.section	.text._ZN9rocsparseL22gebsrmvn_mxn_16_kernelILj75ELj15ELj5EdEEvi20rocsparse_direction_NS_24const_host_device_scalarIT2_EEPKiS6_PKS3_iiS8_S4_PS3_21rocsparse_index_base_b,"axG",@progbits,_ZN9rocsparseL22gebsrmvn_mxn_16_kernelILj75ELj15ELj5EdEEvi20rocsparse_direction_NS_24const_host_device_scalarIT2_EEPKiS6_PKS3_iiS8_S4_PS3_21rocsparse_index_base_b,comdat
.Lfunc_end56:
	.size	_ZN9rocsparseL22gebsrmvn_mxn_16_kernelILj75ELj15ELj5EdEEvi20rocsparse_direction_NS_24const_host_device_scalarIT2_EEPKiS6_PKS3_iiS8_S4_PS3_21rocsparse_index_base_b, .Lfunc_end56-_ZN9rocsparseL22gebsrmvn_mxn_16_kernelILj75ELj15ELj5EdEEvi20rocsparse_direction_NS_24const_host_device_scalarIT2_EEPKiS6_PKS3_iiS8_S4_PS3_21rocsparse_index_base_b
                                        ; -- End function
	.section	.AMDGPU.csdata,"",@progbits
; Kernel info:
; codeLenInByte = 1328
; NumSgprs: 18
; NumVgprs: 17
; ScratchSize: 0
; MemoryBound: 0
; FloatMode: 240
; IeeeMode: 1
; LDSByteSize: 600 bytes/workgroup (compile time only)
; SGPRBlocks: 2
; VGPRBlocks: 2
; NumSGPRsForWavesPerEU: 18
; NumVGPRsForWavesPerEU: 17
; Occupancy: 16
; WaveLimiterHint : 1
; COMPUTE_PGM_RSRC2:SCRATCH_EN: 0
; COMPUTE_PGM_RSRC2:USER_SGPR: 15
; COMPUTE_PGM_RSRC2:TRAP_HANDLER: 0
; COMPUTE_PGM_RSRC2:TGID_X_EN: 1
; COMPUTE_PGM_RSRC2:TGID_Y_EN: 0
; COMPUTE_PGM_RSRC2:TGID_Z_EN: 0
; COMPUTE_PGM_RSRC2:TIDIG_COMP_CNT: 0
	.section	.text._ZN9rocsparseL22gebsrmvn_mxn_16_kernelILj90ELj15ELj6EdEEvi20rocsparse_direction_NS_24const_host_device_scalarIT2_EEPKiS6_PKS3_iiS8_S4_PS3_21rocsparse_index_base_b,"axG",@progbits,_ZN9rocsparseL22gebsrmvn_mxn_16_kernelILj90ELj15ELj6EdEEvi20rocsparse_direction_NS_24const_host_device_scalarIT2_EEPKiS6_PKS3_iiS8_S4_PS3_21rocsparse_index_base_b,comdat
	.globl	_ZN9rocsparseL22gebsrmvn_mxn_16_kernelILj90ELj15ELj6EdEEvi20rocsparse_direction_NS_24const_host_device_scalarIT2_EEPKiS6_PKS3_iiS8_S4_PS3_21rocsparse_index_base_b ; -- Begin function _ZN9rocsparseL22gebsrmvn_mxn_16_kernelILj90ELj15ELj6EdEEvi20rocsparse_direction_NS_24const_host_device_scalarIT2_EEPKiS6_PKS3_iiS8_S4_PS3_21rocsparse_index_base_b
	.p2align	8
	.type	_ZN9rocsparseL22gebsrmvn_mxn_16_kernelILj90ELj15ELj6EdEEvi20rocsparse_direction_NS_24const_host_device_scalarIT2_EEPKiS6_PKS3_iiS8_S4_PS3_21rocsparse_index_base_b,@function
_ZN9rocsparseL22gebsrmvn_mxn_16_kernelILj90ELj15ELj6EdEEvi20rocsparse_direction_NS_24const_host_device_scalarIT2_EEPKiS6_PKS3_iiS8_S4_PS3_21rocsparse_index_base_b: ; @_ZN9rocsparseL22gebsrmvn_mxn_16_kernelILj90ELj15ELj6EdEEvi20rocsparse_direction_NS_24const_host_device_scalarIT2_EEPKiS6_PKS3_iiS8_S4_PS3_21rocsparse_index_base_b
; %bb.0:
	s_clause 0x2
	s_load_b64 s[10:11], s[0:1], 0x48
	s_load_b64 s[4:5], s[0:1], 0x8
	;; [unrolled: 1-line block ×3, first 2 shown]
	s_mov_b32 s8, s15
	s_waitcnt lgkmcnt(0)
	s_bitcmp1_b32 s11, 0
	v_dual_mov_b32 v3, s4 :: v_dual_mov_b32 v4, s5
	s_cselect_b32 s6, -1, 0
	s_delay_alu instid0(SALU_CYCLE_1)
	s_and_b32 vcc_lo, exec_lo, s6
	s_xor_b32 s6, s6, -1
	s_cbranch_vccnz .LBB57_2
; %bb.1:
	v_dual_mov_b32 v1, s4 :: v_dual_mov_b32 v2, s5
	flat_load_b64 v[3:4], v[1:2]
.LBB57_2:
	v_dual_mov_b32 v1, s2 :: v_dual_mov_b32 v2, s3
	s_and_not1_b32 vcc_lo, exec_lo, s6
	s_cbranch_vccnz .LBB57_4
; %bb.3:
	v_dual_mov_b32 v1, s2 :: v_dual_mov_b32 v2, s3
	flat_load_b64 v[1:2], v[1:2]
.LBB57_4:
	s_waitcnt vmcnt(0) lgkmcnt(0)
	v_cmp_neq_f64_e32 vcc_lo, 0, v[3:4]
	v_cmp_neq_f64_e64 s2, 1.0, v[1:2]
	s_delay_alu instid0(VALU_DEP_1) | instskip(NEXT) | instid1(SALU_CYCLE_1)
	s_or_b32 s2, vcc_lo, s2
	s_and_saveexec_b32 s3, s2
	s_cbranch_execz .LBB57_37
; %bb.5:
	v_mul_u32_u24_e32 v5, 0x2aab, v0
	s_clause 0x1
	s_load_b32 s4, s[0:1], 0x4
	s_load_b64 s[2:3], s[0:1], 0x10
	s_delay_alu instid0(VALU_DEP_1) | instskip(NEXT) | instid1(VALU_DEP_1)
	v_lshrrev_b32_e32 v5, 16, v5
	v_mul_lo_u16 v5, v5, 6
	s_delay_alu instid0(VALU_DEP_1) | instskip(NEXT) | instid1(VALU_DEP_1)
	v_sub_nc_u16 v5, v0, v5
	v_and_b32_e32 v12, 0xffff, v5
	s_waitcnt lgkmcnt(0)
	s_cmp_lg_u32 s4, 1
	v_and_b32_e32 v8, 0xffff, v0
	s_cselect_b32 s11, -1, 0
	v_mov_b32_e32 v7, v12
	s_and_b32 vcc_lo, exec_lo, s11
	s_cbranch_vccnz .LBB57_7
; %bb.6:
	v_mul_u32_u24_e32 v5, 0x1112, v8
	s_delay_alu instid0(VALU_DEP_1) | instskip(NEXT) | instid1(VALU_DEP_1)
	v_lshrrev_b32_e32 v5, 16, v5
	v_mul_lo_u16 v6, v5, 43
	s_delay_alu instid0(VALU_DEP_1) | instskip(NEXT) | instid1(VALU_DEP_1)
	v_lshrrev_b16 v6, 8, v6
	v_mul_lo_u16 v6, v6, 6
	s_delay_alu instid0(VALU_DEP_1) | instskip(NEXT) | instid1(VALU_DEP_1)
	v_sub_nc_u16 v5, v5, v6
	v_and_b32_e32 v7, 0xff, v5
.LBB57_7:
	s_ashr_i32 s9, s8, 31
	v_mov_b32_e32 v5, 0
	s_lshl_b64 s[4:5], s[8:9], 2
	v_mov_b32_e32 v6, 0
	s_add_u32 s2, s2, s4
	s_addc_u32 s3, s3, s5
	s_load_b64 s[12:13], s[2:3], 0x0
	s_load_b64 s[2:3], s[0:1], 0x40
	s_waitcnt lgkmcnt(0)
	s_cmp_ge_i32 s12, s13
	s_cbranch_scc1 .LBB57_12
; %bb.8:
	s_clause 0x1
	s_load_b128 s[4:7], s[0:1], 0x18
	s_load_b64 s[0:1], s[0:1], 0x30
	v_mad_u64_u32 v[5:6], null, 0x5a, s12, v[0:1]
	v_mul_u32_u24_e32 v6, 0x2d9, v8
	s_mul_i32 s9, s10, 0x5a
	s_sub_i32 s12, s12, s10
	v_mov_b32_e32 v9, 0
	s_delay_alu instid0(VALU_DEP_2) | instskip(NEXT) | instid1(VALU_DEP_4)
	v_lshrrev_b32_e32 v13, 16, v6
	v_subrev_nc_u32_e32 v8, s9, v5
	v_mov_b32_e32 v5, 0
	v_mov_b32_e32 v6, 0
	s_sub_i32 s9, s13, s10
	s_set_inst_prefetch_distance 0x1
	s_branch .LBB57_10
	.p2align	6
.LBB57_9:                               ;   in Loop: Header=BB57_10 Depth=1
	s_or_b32 exec_lo, exec_lo, s13
	v_add_nc_u32_e32 v8, 0x5a, v8
	s_add_i32 s12, s12, 1
	s_delay_alu instid0(SALU_CYCLE_1)
	s_cmp_ge_i32 s12, s9
	s_cbranch_scc1 .LBB57_12
.LBB57_10:                              ; =>This Inner Loop Header: Depth=1
	v_add_nc_u32_e32 v10, s12, v13
	s_mov_b32 s13, exec_lo
	s_delay_alu instid0(VALU_DEP_1)
	v_cmpx_gt_i32_e64 s9, v10
	s_cbranch_execz .LBB57_9
; %bb.11:                               ;   in Loop: Header=BB57_10 Depth=1
	v_ashrrev_i32_e32 v11, 31, v10
	s_delay_alu instid0(VALU_DEP_1) | instskip(SKIP_1) | instid1(VALU_DEP_1)
	v_lshlrev_b64 v[10:11], 2, v[10:11]
	s_waitcnt lgkmcnt(0)
	v_add_co_u32 v10, vcc_lo, s4, v10
	s_delay_alu instid0(VALU_DEP_2) | instskip(SKIP_3) | instid1(VALU_DEP_1)
	v_add_co_ci_u32_e32 v11, vcc_lo, s5, v11, vcc_lo
	global_load_b32 v10, v[10:11], off
	s_waitcnt vmcnt(0)
	v_subrev_nc_u32_e32 v14, s10, v10
	v_mad_u64_u32 v[10:11], null, v14, 6, v[7:8]
	v_lshlrev_b64 v[14:15], 3, v[8:9]
	s_delay_alu instid0(VALU_DEP_1) | instskip(NEXT) | instid1(VALU_DEP_3)
	v_add_co_u32 v14, vcc_lo, s6, v14
	v_ashrrev_i32_e32 v11, 31, v10
	s_delay_alu instid0(VALU_DEP_3) | instskip(NEXT) | instid1(VALU_DEP_2)
	v_add_co_ci_u32_e32 v15, vcc_lo, s7, v15, vcc_lo
	v_lshlrev_b64 v[10:11], 3, v[10:11]
	s_delay_alu instid0(VALU_DEP_1) | instskip(NEXT) | instid1(VALU_DEP_2)
	v_add_co_u32 v10, vcc_lo, s0, v10
	v_add_co_ci_u32_e32 v11, vcc_lo, s1, v11, vcc_lo
	global_load_b64 v[14:15], v[14:15], off
	global_load_b64 v[10:11], v[10:11], off
	s_waitcnt vmcnt(0)
	v_fma_f64 v[5:6], v[14:15], v[10:11], v[5:6]
	s_branch .LBB57_9
.LBB57_12:
	s_set_inst_prefetch_distance 0x2
	v_lshlrev_b32_e32 v9, 3, v0
	s_and_b32 vcc_lo, exec_lo, s11
	ds_store_b64 v9, v[5:6]
	s_waitcnt lgkmcnt(0)
	s_barrier
	buffer_gl0_inv
	s_cbranch_vccz .LBB57_22
; %bb.13:
	v_cmp_gt_u16_e32 vcc_lo, 2, v12
	s_and_saveexec_b32 s0, vcc_lo
	s_cbranch_execz .LBB57_15
; %bb.14:
	ds_load_2addr_b64 v[13:16], v9 offset1:4
	s_waitcnt lgkmcnt(0)
	v_add_f64 v[7:8], v[15:16], v[13:14]
	ds_store_b64 v9, v[7:8]
.LBB57_15:
	s_or_b32 exec_lo, exec_lo, s0
	s_waitcnt lgkmcnt(0)
	s_barrier
	buffer_gl0_inv
	s_and_saveexec_b32 s0, vcc_lo
	s_cbranch_execz .LBB57_17
; %bb.16:
	ds_load_2addr_b64 v[13:16], v9 offset1:2
	s_waitcnt lgkmcnt(0)
	v_add_f64 v[7:8], v[15:16], v[13:14]
	ds_store_b64 v9, v[7:8]
.LBB57_17:
	s_or_b32 exec_lo, exec_lo, s0
	s_delay_alu instid0(SALU_CYCLE_1)
	s_mov_b32 s0, exec_lo
	s_waitcnt lgkmcnt(0)
	s_barrier
	buffer_gl0_inv
	v_cmpx_eq_u16_e32 0, v12
	s_cbranch_execz .LBB57_19
; %bb.18:
	ds_load_2addr_b64 v[10:13], v9 offset1:1
	s_waitcnt lgkmcnt(0)
	v_add_f64 v[7:8], v[12:13], v[10:11]
	ds_store_b64 v9, v[7:8]
.LBB57_19:
	s_or_b32 exec_lo, exec_lo, s0
	v_dual_mov_b32 v8, v6 :: v_dual_mov_b32 v7, v5
	s_mov_b32 s0, exec_lo
	s_waitcnt lgkmcnt(0)
	s_barrier
	buffer_gl0_inv
	v_cmpx_gt_u32_e32 15, v0
	s_cbranch_execz .LBB57_21
; %bb.20:
	v_mad_u32_u24 v7, v0, 40, v9
	ds_load_b64 v[7:8], v7
.LBB57_21:
	s_or_b32 exec_lo, exec_lo, s0
	s_branch .LBB57_32
.LBB57_22:
                                        ; implicit-def: $vgpr7_vgpr8
	s_cbranch_execz .LBB57_32
; %bb.23:
	v_cmp_gt_u32_e32 vcc_lo, 30, v0
	s_and_saveexec_b32 s0, vcc_lo
	s_cbranch_execz .LBB57_25
; %bb.24:
	ds_load_2addr_b64 v[10:13], v9 offset1:60
	s_waitcnt lgkmcnt(0)
	v_add_f64 v[7:8], v[12:13], v[10:11]
	ds_store_b64 v9, v[7:8]
.LBB57_25:
	s_or_b32 exec_lo, exec_lo, s0
	s_waitcnt lgkmcnt(0)
	s_barrier
	buffer_gl0_inv
	s_and_saveexec_b32 s0, vcc_lo
	s_cbranch_execz .LBB57_27
; %bb.26:
	ds_load_2addr_b64 v[10:13], v9 offset1:30
	s_waitcnt lgkmcnt(0)
	v_add_f64 v[7:8], v[12:13], v[10:11]
	ds_store_b64 v9, v[7:8]
.LBB57_27:
	s_or_b32 exec_lo, exec_lo, s0
	s_delay_alu instid0(SALU_CYCLE_1)
	s_mov_b32 s0, exec_lo
	s_waitcnt lgkmcnt(0)
	buffer_gl0_inv
	v_cmpx_lt_u32_e32 14, v0
	s_xor_b32 s0, exec_lo, s0
	s_cbranch_execz .LBB57_29
; %bb.28:
	buffer_gl0_inv
                                        ; implicit-def: $vgpr9
.LBB57_29:
	s_and_not1_saveexec_b32 s0, s0
	s_cbranch_execz .LBB57_31
; %bb.30:
	ds_load_2addr_b64 v[5:8], v9 offset1:15
	s_waitcnt lgkmcnt(0)
	v_add_f64 v[5:6], v[7:8], v[5:6]
	ds_store_b64 v9, v[5:6]
	s_waitcnt lgkmcnt(0)
	buffer_gl0_inv
	ds_load_b64 v[5:6], v9
.LBB57_31:
	s_or_b32 exec_lo, exec_lo, s0
	s_waitcnt lgkmcnt(0)
	v_dual_mov_b32 v8, v6 :: v_dual_mov_b32 v7, v5
.LBB57_32:
	v_cmp_gt_u32_e32 vcc_lo, 15, v0
	s_and_b32 exec_lo, exec_lo, vcc_lo
	s_cbranch_execz .LBB57_37
; %bb.33:
	s_waitcnt lgkmcnt(0)
	v_mul_f64 v[3:4], v[3:4], v[7:8]
	s_mov_b32 s0, exec_lo
	v_cmpx_eq_f64_e32 0, v[1:2]
	s_xor_b32 s0, exec_lo, s0
	s_cbranch_execz .LBB57_35
; %bb.34:
	v_mad_u64_u32 v[1:2], null, s8, 15, v[0:1]
	v_mov_b32_e32 v2, 0
	s_delay_alu instid0(VALU_DEP_1) | instskip(NEXT) | instid1(VALU_DEP_1)
	v_lshlrev_b64 v[0:1], 3, v[1:2]
	v_add_co_u32 v0, vcc_lo, s2, v0
	s_delay_alu instid0(VALU_DEP_2)
	v_add_co_ci_u32_e32 v1, vcc_lo, s3, v1, vcc_lo
	global_store_b64 v[0:1], v[3:4], off
                                        ; implicit-def: $vgpr0
                                        ; implicit-def: $vgpr1_vgpr2
                                        ; implicit-def: $vgpr3_vgpr4
.LBB57_35:
	s_and_not1_saveexec_b32 s0, s0
	s_cbranch_execz .LBB57_37
; %bb.36:
	v_mad_u64_u32 v[5:6], null, s8, 15, v[0:1]
	v_mov_b32_e32 v6, 0
	s_delay_alu instid0(VALU_DEP_1) | instskip(NEXT) | instid1(VALU_DEP_1)
	v_lshlrev_b64 v[5:6], 3, v[5:6]
	v_add_co_u32 v5, vcc_lo, s2, v5
	s_delay_alu instid0(VALU_DEP_2)
	v_add_co_ci_u32_e32 v6, vcc_lo, s3, v6, vcc_lo
	global_load_b64 v[7:8], v[5:6], off
	s_waitcnt vmcnt(0)
	v_fma_f64 v[0:1], v[1:2], v[7:8], v[3:4]
	global_store_b64 v[5:6], v[0:1], off
.LBB57_37:
	s_nop 0
	s_sendmsg sendmsg(MSG_DEALLOC_VGPRS)
	s_endpgm
	.section	.rodata,"a",@progbits
	.p2align	6, 0x0
	.amdhsa_kernel _ZN9rocsparseL22gebsrmvn_mxn_16_kernelILj90ELj15ELj6EdEEvi20rocsparse_direction_NS_24const_host_device_scalarIT2_EEPKiS6_PKS3_iiS8_S4_PS3_21rocsparse_index_base_b
		.amdhsa_group_segment_fixed_size 720
		.amdhsa_private_segment_fixed_size 0
		.amdhsa_kernarg_size 80
		.amdhsa_user_sgpr_count 15
		.amdhsa_user_sgpr_dispatch_ptr 0
		.amdhsa_user_sgpr_queue_ptr 0
		.amdhsa_user_sgpr_kernarg_segment_ptr 1
		.amdhsa_user_sgpr_dispatch_id 0
		.amdhsa_user_sgpr_private_segment_size 0
		.amdhsa_wavefront_size32 1
		.amdhsa_uses_dynamic_stack 0
		.amdhsa_enable_private_segment 0
		.amdhsa_system_sgpr_workgroup_id_x 1
		.amdhsa_system_sgpr_workgroup_id_y 0
		.amdhsa_system_sgpr_workgroup_id_z 0
		.amdhsa_system_sgpr_workgroup_info 0
		.amdhsa_system_vgpr_workitem_id 0
		.amdhsa_next_free_vgpr 17
		.amdhsa_next_free_sgpr 16
		.amdhsa_reserve_vcc 1
		.amdhsa_float_round_mode_32 0
		.amdhsa_float_round_mode_16_64 0
		.amdhsa_float_denorm_mode_32 3
		.amdhsa_float_denorm_mode_16_64 3
		.amdhsa_dx10_clamp 1
		.amdhsa_ieee_mode 1
		.amdhsa_fp16_overflow 0
		.amdhsa_workgroup_processor_mode 1
		.amdhsa_memory_ordered 1
		.amdhsa_forward_progress 0
		.amdhsa_shared_vgpr_count 0
		.amdhsa_exception_fp_ieee_invalid_op 0
		.amdhsa_exception_fp_denorm_src 0
		.amdhsa_exception_fp_ieee_div_zero 0
		.amdhsa_exception_fp_ieee_overflow 0
		.amdhsa_exception_fp_ieee_underflow 0
		.amdhsa_exception_fp_ieee_inexact 0
		.amdhsa_exception_int_div_zero 0
	.end_amdhsa_kernel
	.section	.text._ZN9rocsparseL22gebsrmvn_mxn_16_kernelILj90ELj15ELj6EdEEvi20rocsparse_direction_NS_24const_host_device_scalarIT2_EEPKiS6_PKS3_iiS8_S4_PS3_21rocsparse_index_base_b,"axG",@progbits,_ZN9rocsparseL22gebsrmvn_mxn_16_kernelILj90ELj15ELj6EdEEvi20rocsparse_direction_NS_24const_host_device_scalarIT2_EEPKiS6_PKS3_iiS8_S4_PS3_21rocsparse_index_base_b,comdat
.Lfunc_end57:
	.size	_ZN9rocsparseL22gebsrmvn_mxn_16_kernelILj90ELj15ELj6EdEEvi20rocsparse_direction_NS_24const_host_device_scalarIT2_EEPKiS6_PKS3_iiS8_S4_PS3_21rocsparse_index_base_b, .Lfunc_end57-_ZN9rocsparseL22gebsrmvn_mxn_16_kernelILj90ELj15ELj6EdEEvi20rocsparse_direction_NS_24const_host_device_scalarIT2_EEPKiS6_PKS3_iiS8_S4_PS3_21rocsparse_index_base_b
                                        ; -- End function
	.section	.AMDGPU.csdata,"",@progbits
; Kernel info:
; codeLenInByte = 1304
; NumSgprs: 18
; NumVgprs: 17
; ScratchSize: 0
; MemoryBound: 0
; FloatMode: 240
; IeeeMode: 1
; LDSByteSize: 720 bytes/workgroup (compile time only)
; SGPRBlocks: 2
; VGPRBlocks: 2
; NumSGPRsForWavesPerEU: 18
; NumVGPRsForWavesPerEU: 17
; Occupancy: 16
; WaveLimiterHint : 1
; COMPUTE_PGM_RSRC2:SCRATCH_EN: 0
; COMPUTE_PGM_RSRC2:USER_SGPR: 15
; COMPUTE_PGM_RSRC2:TRAP_HANDLER: 0
; COMPUTE_PGM_RSRC2:TGID_X_EN: 1
; COMPUTE_PGM_RSRC2:TGID_Y_EN: 0
; COMPUTE_PGM_RSRC2:TGID_Z_EN: 0
; COMPUTE_PGM_RSRC2:TIDIG_COMP_CNT: 0
	.section	.text._ZN9rocsparseL22gebsrmvn_mxn_16_kernelILj105ELj15ELj7EdEEvi20rocsparse_direction_NS_24const_host_device_scalarIT2_EEPKiS6_PKS3_iiS8_S4_PS3_21rocsparse_index_base_b,"axG",@progbits,_ZN9rocsparseL22gebsrmvn_mxn_16_kernelILj105ELj15ELj7EdEEvi20rocsparse_direction_NS_24const_host_device_scalarIT2_EEPKiS6_PKS3_iiS8_S4_PS3_21rocsparse_index_base_b,comdat
	.globl	_ZN9rocsparseL22gebsrmvn_mxn_16_kernelILj105ELj15ELj7EdEEvi20rocsparse_direction_NS_24const_host_device_scalarIT2_EEPKiS6_PKS3_iiS8_S4_PS3_21rocsparse_index_base_b ; -- Begin function _ZN9rocsparseL22gebsrmvn_mxn_16_kernelILj105ELj15ELj7EdEEvi20rocsparse_direction_NS_24const_host_device_scalarIT2_EEPKiS6_PKS3_iiS8_S4_PS3_21rocsparse_index_base_b
	.p2align	8
	.type	_ZN9rocsparseL22gebsrmvn_mxn_16_kernelILj105ELj15ELj7EdEEvi20rocsparse_direction_NS_24const_host_device_scalarIT2_EEPKiS6_PKS3_iiS8_S4_PS3_21rocsparse_index_base_b,@function
_ZN9rocsparseL22gebsrmvn_mxn_16_kernelILj105ELj15ELj7EdEEvi20rocsparse_direction_NS_24const_host_device_scalarIT2_EEPKiS6_PKS3_iiS8_S4_PS3_21rocsparse_index_base_b: ; @_ZN9rocsparseL22gebsrmvn_mxn_16_kernelILj105ELj15ELj7EdEEvi20rocsparse_direction_NS_24const_host_device_scalarIT2_EEPKiS6_PKS3_iiS8_S4_PS3_21rocsparse_index_base_b
; %bb.0:
	s_clause 0x2
	s_load_b64 s[10:11], s[0:1], 0x48
	s_load_b64 s[4:5], s[0:1], 0x8
	;; [unrolled: 1-line block ×3, first 2 shown]
	s_mov_b32 s8, s15
	s_waitcnt lgkmcnt(0)
	s_bitcmp1_b32 s11, 0
	v_dual_mov_b32 v3, s4 :: v_dual_mov_b32 v4, s5
	s_cselect_b32 s6, -1, 0
	s_delay_alu instid0(SALU_CYCLE_1)
	s_and_b32 vcc_lo, exec_lo, s6
	s_xor_b32 s6, s6, -1
	s_cbranch_vccnz .LBB58_2
; %bb.1:
	v_dual_mov_b32 v1, s4 :: v_dual_mov_b32 v2, s5
	flat_load_b64 v[3:4], v[1:2]
.LBB58_2:
	v_dual_mov_b32 v1, s2 :: v_dual_mov_b32 v2, s3
	s_and_not1_b32 vcc_lo, exec_lo, s6
	s_cbranch_vccnz .LBB58_4
; %bb.3:
	v_dual_mov_b32 v1, s2 :: v_dual_mov_b32 v2, s3
	flat_load_b64 v[1:2], v[1:2]
.LBB58_4:
	s_waitcnt vmcnt(0) lgkmcnt(0)
	v_cmp_neq_f64_e32 vcc_lo, 0, v[3:4]
	v_cmp_neq_f64_e64 s2, 1.0, v[1:2]
	s_delay_alu instid0(VALU_DEP_1) | instskip(NEXT) | instid1(SALU_CYCLE_1)
	s_or_b32 s2, vcc_lo, s2
	s_and_saveexec_b32 s3, s2
	s_cbranch_execz .LBB58_37
; %bb.5:
	v_mul_u32_u24_e32 v5, 0x2493, v0
	s_clause 0x1
	s_load_b32 s4, s[0:1], 0x4
	s_load_b64 s[2:3], s[0:1], 0x10
	s_delay_alu instid0(VALU_DEP_1) | instskip(NEXT) | instid1(VALU_DEP_1)
	v_lshrrev_b32_e32 v5, 16, v5
	v_mul_lo_u16 v5, v5, 7
	s_delay_alu instid0(VALU_DEP_1) | instskip(NEXT) | instid1(VALU_DEP_1)
	v_sub_nc_u16 v5, v0, v5
	v_and_b32_e32 v12, 0xffff, v5
	s_waitcnt lgkmcnt(0)
	s_cmp_lg_u32 s4, 1
	v_and_b32_e32 v8, 0xffff, v0
	s_cselect_b32 s11, -1, 0
	v_mov_b32_e32 v7, v12
	s_and_b32 vcc_lo, exec_lo, s11
	s_cbranch_vccnz .LBB58_7
; %bb.6:
	v_mul_u32_u24_e32 v5, 0x1112, v8
	s_delay_alu instid0(VALU_DEP_1) | instskip(NEXT) | instid1(VALU_DEP_1)
	v_lshrrev_b32_e32 v5, 16, v5
	v_mul_lo_u16 v6, v5, 37
	s_delay_alu instid0(VALU_DEP_1) | instskip(NEXT) | instid1(VALU_DEP_1)
	v_lshrrev_b16 v6, 8, v6
	v_mul_lo_u16 v6, v6, 7
	s_delay_alu instid0(VALU_DEP_1) | instskip(NEXT) | instid1(VALU_DEP_1)
	v_sub_nc_u16 v5, v5, v6
	v_and_b32_e32 v7, 0xff, v5
.LBB58_7:
	s_ashr_i32 s9, s8, 31
	v_mov_b32_e32 v5, 0
	s_lshl_b64 s[4:5], s[8:9], 2
	v_mov_b32_e32 v6, 0
	s_add_u32 s2, s2, s4
	s_addc_u32 s3, s3, s5
	s_load_b64 s[12:13], s[2:3], 0x0
	s_load_b64 s[2:3], s[0:1], 0x40
	s_waitcnt lgkmcnt(0)
	s_cmp_ge_i32 s12, s13
	s_cbranch_scc1 .LBB58_12
; %bb.8:
	s_clause 0x1
	s_load_b128 s[4:7], s[0:1], 0x18
	s_load_b64 s[0:1], s[0:1], 0x30
	v_mad_u64_u32 v[5:6], null, 0x69, s12, v[0:1]
	v_mul_u32_u24_e32 v6, 0x271, v8
	s_mul_i32 s9, s10, 0x69
	s_sub_i32 s12, s12, s10
	v_mov_b32_e32 v9, 0
	s_delay_alu instid0(VALU_DEP_2) | instskip(NEXT) | instid1(VALU_DEP_4)
	v_lshrrev_b32_e32 v13, 16, v6
	v_subrev_nc_u32_e32 v8, s9, v5
	v_mov_b32_e32 v5, 0
	v_mov_b32_e32 v6, 0
	s_sub_i32 s9, s13, s10
	s_set_inst_prefetch_distance 0x1
	s_branch .LBB58_10
	.p2align	6
.LBB58_9:                               ;   in Loop: Header=BB58_10 Depth=1
	s_or_b32 exec_lo, exec_lo, s13
	v_add_nc_u32_e32 v8, 0x69, v8
	s_add_i32 s12, s12, 1
	s_delay_alu instid0(SALU_CYCLE_1)
	s_cmp_ge_i32 s12, s9
	s_cbranch_scc1 .LBB58_12
.LBB58_10:                              ; =>This Inner Loop Header: Depth=1
	v_add_nc_u32_e32 v10, s12, v13
	s_mov_b32 s13, exec_lo
	s_delay_alu instid0(VALU_DEP_1)
	v_cmpx_gt_i32_e64 s9, v10
	s_cbranch_execz .LBB58_9
; %bb.11:                               ;   in Loop: Header=BB58_10 Depth=1
	v_ashrrev_i32_e32 v11, 31, v10
	s_delay_alu instid0(VALU_DEP_1) | instskip(SKIP_1) | instid1(VALU_DEP_1)
	v_lshlrev_b64 v[10:11], 2, v[10:11]
	s_waitcnt lgkmcnt(0)
	v_add_co_u32 v10, vcc_lo, s4, v10
	s_delay_alu instid0(VALU_DEP_2) | instskip(SKIP_3) | instid1(VALU_DEP_1)
	v_add_co_ci_u32_e32 v11, vcc_lo, s5, v11, vcc_lo
	global_load_b32 v10, v[10:11], off
	s_waitcnt vmcnt(0)
	v_subrev_nc_u32_e32 v14, s10, v10
	v_mad_u64_u32 v[10:11], null, v14, 7, v[7:8]
	v_lshlrev_b64 v[14:15], 3, v[8:9]
	s_delay_alu instid0(VALU_DEP_1) | instskip(NEXT) | instid1(VALU_DEP_3)
	v_add_co_u32 v14, vcc_lo, s6, v14
	v_ashrrev_i32_e32 v11, 31, v10
	s_delay_alu instid0(VALU_DEP_3) | instskip(NEXT) | instid1(VALU_DEP_2)
	v_add_co_ci_u32_e32 v15, vcc_lo, s7, v15, vcc_lo
	v_lshlrev_b64 v[10:11], 3, v[10:11]
	s_delay_alu instid0(VALU_DEP_1) | instskip(NEXT) | instid1(VALU_DEP_2)
	v_add_co_u32 v10, vcc_lo, s0, v10
	v_add_co_ci_u32_e32 v11, vcc_lo, s1, v11, vcc_lo
	global_load_b64 v[14:15], v[14:15], off
	global_load_b64 v[10:11], v[10:11], off
	s_waitcnt vmcnt(0)
	v_fma_f64 v[5:6], v[14:15], v[10:11], v[5:6]
	s_branch .LBB58_9
.LBB58_12:
	s_set_inst_prefetch_distance 0x2
	v_lshlrev_b32_e32 v9, 3, v0
	s_and_b32 vcc_lo, exec_lo, s11
	ds_store_b64 v9, v[5:6]
	s_waitcnt lgkmcnt(0)
	s_barrier
	buffer_gl0_inv
	s_cbranch_vccz .LBB58_22
; %bb.13:
	s_mov_b32 s0, exec_lo
	v_cmpx_gt_u16_e32 3, v12
	s_cbranch_execz .LBB58_15
; %bb.14:
	ds_load_2addr_b64 v[13:16], v9 offset1:4
	s_waitcnt lgkmcnt(0)
	v_add_f64 v[7:8], v[15:16], v[13:14]
	ds_store_b64 v9, v[7:8]
.LBB58_15:
	s_or_b32 exec_lo, exec_lo, s0
	s_delay_alu instid0(SALU_CYCLE_1)
	s_mov_b32 s0, exec_lo
	s_waitcnt lgkmcnt(0)
	s_barrier
	buffer_gl0_inv
	v_cmpx_gt_u16_e32 2, v12
	s_cbranch_execz .LBB58_17
; %bb.16:
	ds_load_2addr_b64 v[13:16], v9 offset1:2
	s_waitcnt lgkmcnt(0)
	v_add_f64 v[7:8], v[15:16], v[13:14]
	ds_store_b64 v9, v[7:8]
.LBB58_17:
	s_or_b32 exec_lo, exec_lo, s0
	s_delay_alu instid0(SALU_CYCLE_1)
	s_mov_b32 s0, exec_lo
	s_waitcnt lgkmcnt(0)
	s_barrier
	buffer_gl0_inv
	v_cmpx_eq_u16_e32 0, v12
	s_cbranch_execz .LBB58_19
; %bb.18:
	ds_load_2addr_b64 v[10:13], v9 offset1:1
	s_waitcnt lgkmcnt(0)
	v_add_f64 v[7:8], v[12:13], v[10:11]
	ds_store_b64 v9, v[7:8]
.LBB58_19:
	s_or_b32 exec_lo, exec_lo, s0
	v_dual_mov_b32 v8, v6 :: v_dual_mov_b32 v7, v5
	s_mov_b32 s0, exec_lo
	s_waitcnt lgkmcnt(0)
	s_barrier
	buffer_gl0_inv
	v_cmpx_gt_u32_e32 15, v0
	s_cbranch_execz .LBB58_21
; %bb.20:
	v_mad_u32_u24 v7, v0, 48, v9
	ds_load_b64 v[7:8], v7
.LBB58_21:
	s_or_b32 exec_lo, exec_lo, s0
	s_branch .LBB58_32
.LBB58_22:
                                        ; implicit-def: $vgpr7_vgpr8
	s_cbranch_execz .LBB58_32
; %bb.23:
	s_mov_b32 s0, exec_lo
	v_cmpx_gt_u32_e32 45, v0
	s_cbranch_execz .LBB58_25
; %bb.24:
	ds_load_2addr_b64 v[10:13], v9 offset1:60
	s_waitcnt lgkmcnt(0)
	v_add_f64 v[7:8], v[12:13], v[10:11]
	ds_store_b64 v9, v[7:8]
.LBB58_25:
	s_or_b32 exec_lo, exec_lo, s0
	s_delay_alu instid0(SALU_CYCLE_1)
	s_mov_b32 s0, exec_lo
	s_waitcnt lgkmcnt(0)
	s_barrier
	buffer_gl0_inv
	v_cmpx_gt_u32_e32 30, v0
	s_cbranch_execz .LBB58_27
; %bb.26:
	ds_load_2addr_b64 v[10:13], v9 offset1:30
	s_waitcnt lgkmcnt(0)
	v_add_f64 v[7:8], v[12:13], v[10:11]
	ds_store_b64 v9, v[7:8]
.LBB58_27:
	s_or_b32 exec_lo, exec_lo, s0
	s_delay_alu instid0(SALU_CYCLE_1)
	s_mov_b32 s0, exec_lo
	s_waitcnt lgkmcnt(0)
	buffer_gl0_inv
	v_cmpx_lt_u32_e32 14, v0
	s_xor_b32 s0, exec_lo, s0
	s_cbranch_execz .LBB58_29
; %bb.28:
	buffer_gl0_inv
                                        ; implicit-def: $vgpr9
.LBB58_29:
	s_and_not1_saveexec_b32 s0, s0
	s_cbranch_execz .LBB58_31
; %bb.30:
	ds_load_2addr_b64 v[5:8], v9 offset1:15
	s_waitcnt lgkmcnt(0)
	v_add_f64 v[5:6], v[7:8], v[5:6]
	ds_store_b64 v9, v[5:6]
	s_waitcnt lgkmcnt(0)
	buffer_gl0_inv
	ds_load_b64 v[5:6], v9
.LBB58_31:
	s_or_b32 exec_lo, exec_lo, s0
	s_waitcnt lgkmcnt(0)
	v_dual_mov_b32 v8, v6 :: v_dual_mov_b32 v7, v5
.LBB58_32:
	v_cmp_gt_u32_e32 vcc_lo, 15, v0
	s_and_b32 exec_lo, exec_lo, vcc_lo
	s_cbranch_execz .LBB58_37
; %bb.33:
	s_waitcnt lgkmcnt(0)
	v_mul_f64 v[3:4], v[3:4], v[7:8]
	s_mov_b32 s0, exec_lo
	v_cmpx_eq_f64_e32 0, v[1:2]
	s_xor_b32 s0, exec_lo, s0
	s_cbranch_execz .LBB58_35
; %bb.34:
	v_mad_u64_u32 v[1:2], null, s8, 15, v[0:1]
	v_mov_b32_e32 v2, 0
	s_delay_alu instid0(VALU_DEP_1) | instskip(NEXT) | instid1(VALU_DEP_1)
	v_lshlrev_b64 v[0:1], 3, v[1:2]
	v_add_co_u32 v0, vcc_lo, s2, v0
	s_delay_alu instid0(VALU_DEP_2)
	v_add_co_ci_u32_e32 v1, vcc_lo, s3, v1, vcc_lo
	global_store_b64 v[0:1], v[3:4], off
                                        ; implicit-def: $vgpr0
                                        ; implicit-def: $vgpr1_vgpr2
                                        ; implicit-def: $vgpr3_vgpr4
.LBB58_35:
	s_and_not1_saveexec_b32 s0, s0
	s_cbranch_execz .LBB58_37
; %bb.36:
	v_mad_u64_u32 v[5:6], null, s8, 15, v[0:1]
	v_mov_b32_e32 v6, 0
	s_delay_alu instid0(VALU_DEP_1) | instskip(NEXT) | instid1(VALU_DEP_1)
	v_lshlrev_b64 v[5:6], 3, v[5:6]
	v_add_co_u32 v5, vcc_lo, s2, v5
	s_delay_alu instid0(VALU_DEP_2)
	v_add_co_ci_u32_e32 v6, vcc_lo, s3, v6, vcc_lo
	global_load_b64 v[7:8], v[5:6], off
	s_waitcnt vmcnt(0)
	v_fma_f64 v[0:1], v[1:2], v[7:8], v[3:4]
	global_store_b64 v[5:6], v[0:1], off
.LBB58_37:
	s_nop 0
	s_sendmsg sendmsg(MSG_DEALLOC_VGPRS)
	s_endpgm
	.section	.rodata,"a",@progbits
	.p2align	6, 0x0
	.amdhsa_kernel _ZN9rocsparseL22gebsrmvn_mxn_16_kernelILj105ELj15ELj7EdEEvi20rocsparse_direction_NS_24const_host_device_scalarIT2_EEPKiS6_PKS3_iiS8_S4_PS3_21rocsparse_index_base_b
		.amdhsa_group_segment_fixed_size 840
		.amdhsa_private_segment_fixed_size 0
		.amdhsa_kernarg_size 80
		.amdhsa_user_sgpr_count 15
		.amdhsa_user_sgpr_dispatch_ptr 0
		.amdhsa_user_sgpr_queue_ptr 0
		.amdhsa_user_sgpr_kernarg_segment_ptr 1
		.amdhsa_user_sgpr_dispatch_id 0
		.amdhsa_user_sgpr_private_segment_size 0
		.amdhsa_wavefront_size32 1
		.amdhsa_uses_dynamic_stack 0
		.amdhsa_enable_private_segment 0
		.amdhsa_system_sgpr_workgroup_id_x 1
		.amdhsa_system_sgpr_workgroup_id_y 0
		.amdhsa_system_sgpr_workgroup_id_z 0
		.amdhsa_system_sgpr_workgroup_info 0
		.amdhsa_system_vgpr_workitem_id 0
		.amdhsa_next_free_vgpr 17
		.amdhsa_next_free_sgpr 16
		.amdhsa_reserve_vcc 1
		.amdhsa_float_round_mode_32 0
		.amdhsa_float_round_mode_16_64 0
		.amdhsa_float_denorm_mode_32 3
		.amdhsa_float_denorm_mode_16_64 3
		.amdhsa_dx10_clamp 1
		.amdhsa_ieee_mode 1
		.amdhsa_fp16_overflow 0
		.amdhsa_workgroup_processor_mode 1
		.amdhsa_memory_ordered 1
		.amdhsa_forward_progress 0
		.amdhsa_shared_vgpr_count 0
		.amdhsa_exception_fp_ieee_invalid_op 0
		.amdhsa_exception_fp_denorm_src 0
		.amdhsa_exception_fp_ieee_div_zero 0
		.amdhsa_exception_fp_ieee_overflow 0
		.amdhsa_exception_fp_ieee_underflow 0
		.amdhsa_exception_fp_ieee_inexact 0
		.amdhsa_exception_int_div_zero 0
	.end_amdhsa_kernel
	.section	.text._ZN9rocsparseL22gebsrmvn_mxn_16_kernelILj105ELj15ELj7EdEEvi20rocsparse_direction_NS_24const_host_device_scalarIT2_EEPKiS6_PKS3_iiS8_S4_PS3_21rocsparse_index_base_b,"axG",@progbits,_ZN9rocsparseL22gebsrmvn_mxn_16_kernelILj105ELj15ELj7EdEEvi20rocsparse_direction_NS_24const_host_device_scalarIT2_EEPKiS6_PKS3_iiS8_S4_PS3_21rocsparse_index_base_b,comdat
.Lfunc_end58:
	.size	_ZN9rocsparseL22gebsrmvn_mxn_16_kernelILj105ELj15ELj7EdEEvi20rocsparse_direction_NS_24const_host_device_scalarIT2_EEPKiS6_PKS3_iiS8_S4_PS3_21rocsparse_index_base_b, .Lfunc_end58-_ZN9rocsparseL22gebsrmvn_mxn_16_kernelILj105ELj15ELj7EdEEvi20rocsparse_direction_NS_24const_host_device_scalarIT2_EEPKiS6_PKS3_iiS8_S4_PS3_21rocsparse_index_base_b
                                        ; -- End function
	.section	.AMDGPU.csdata,"",@progbits
; Kernel info:
; codeLenInByte = 1320
; NumSgprs: 18
; NumVgprs: 17
; ScratchSize: 0
; MemoryBound: 0
; FloatMode: 240
; IeeeMode: 1
; LDSByteSize: 840 bytes/workgroup (compile time only)
; SGPRBlocks: 2
; VGPRBlocks: 2
; NumSGPRsForWavesPerEU: 18
; NumVGPRsForWavesPerEU: 17
; Occupancy: 16
; WaveLimiterHint : 1
; COMPUTE_PGM_RSRC2:SCRATCH_EN: 0
; COMPUTE_PGM_RSRC2:USER_SGPR: 15
; COMPUTE_PGM_RSRC2:TRAP_HANDLER: 0
; COMPUTE_PGM_RSRC2:TGID_X_EN: 1
; COMPUTE_PGM_RSRC2:TGID_Y_EN: 0
; COMPUTE_PGM_RSRC2:TGID_Z_EN: 0
; COMPUTE_PGM_RSRC2:TIDIG_COMP_CNT: 0
	.section	.text._ZN9rocsparseL22gebsrmvn_mxn_16_kernelILj120ELj15ELj8EdEEvi20rocsparse_direction_NS_24const_host_device_scalarIT2_EEPKiS6_PKS3_iiS8_S4_PS3_21rocsparse_index_base_b,"axG",@progbits,_ZN9rocsparseL22gebsrmvn_mxn_16_kernelILj120ELj15ELj8EdEEvi20rocsparse_direction_NS_24const_host_device_scalarIT2_EEPKiS6_PKS3_iiS8_S4_PS3_21rocsparse_index_base_b,comdat
	.globl	_ZN9rocsparseL22gebsrmvn_mxn_16_kernelILj120ELj15ELj8EdEEvi20rocsparse_direction_NS_24const_host_device_scalarIT2_EEPKiS6_PKS3_iiS8_S4_PS3_21rocsparse_index_base_b ; -- Begin function _ZN9rocsparseL22gebsrmvn_mxn_16_kernelILj120ELj15ELj8EdEEvi20rocsparse_direction_NS_24const_host_device_scalarIT2_EEPKiS6_PKS3_iiS8_S4_PS3_21rocsparse_index_base_b
	.p2align	8
	.type	_ZN9rocsparseL22gebsrmvn_mxn_16_kernelILj120ELj15ELj8EdEEvi20rocsparse_direction_NS_24const_host_device_scalarIT2_EEPKiS6_PKS3_iiS8_S4_PS3_21rocsparse_index_base_b,@function
_ZN9rocsparseL22gebsrmvn_mxn_16_kernelILj120ELj15ELj8EdEEvi20rocsparse_direction_NS_24const_host_device_scalarIT2_EEPKiS6_PKS3_iiS8_S4_PS3_21rocsparse_index_base_b: ; @_ZN9rocsparseL22gebsrmvn_mxn_16_kernelILj120ELj15ELj8EdEEvi20rocsparse_direction_NS_24const_host_device_scalarIT2_EEPKiS6_PKS3_iiS8_S4_PS3_21rocsparse_index_base_b
; %bb.0:
	s_clause 0x2
	s_load_b64 s[10:11], s[0:1], 0x48
	s_load_b64 s[4:5], s[0:1], 0x8
	;; [unrolled: 1-line block ×3, first 2 shown]
	s_mov_b32 s8, s15
	s_waitcnt lgkmcnt(0)
	s_bitcmp1_b32 s11, 0
	v_dual_mov_b32 v3, s4 :: v_dual_mov_b32 v4, s5
	s_cselect_b32 s6, -1, 0
	s_delay_alu instid0(SALU_CYCLE_1)
	s_and_b32 vcc_lo, exec_lo, s6
	s_xor_b32 s6, s6, -1
	s_cbranch_vccnz .LBB59_2
; %bb.1:
	v_dual_mov_b32 v1, s4 :: v_dual_mov_b32 v2, s5
	flat_load_b64 v[3:4], v[1:2]
.LBB59_2:
	v_dual_mov_b32 v1, s2 :: v_dual_mov_b32 v2, s3
	s_and_not1_b32 vcc_lo, exec_lo, s6
	s_cbranch_vccnz .LBB59_4
; %bb.3:
	v_dual_mov_b32 v1, s2 :: v_dual_mov_b32 v2, s3
	flat_load_b64 v[1:2], v[1:2]
.LBB59_4:
	s_waitcnt vmcnt(0) lgkmcnt(0)
	v_cmp_neq_f64_e32 vcc_lo, 0, v[3:4]
	v_cmp_neq_f64_e64 s2, 1.0, v[1:2]
	s_delay_alu instid0(VALU_DEP_1) | instskip(NEXT) | instid1(SALU_CYCLE_1)
	s_or_b32 s2, vcc_lo, s2
	s_and_saveexec_b32 s3, s2
	s_cbranch_execz .LBB59_37
; %bb.5:
	s_clause 0x1
	s_load_b32 s4, s[0:1], 0x4
	s_load_b64 s[2:3], s[0:1], 0x10
	v_and_b32_e32 v11, 7, v0
	s_delay_alu instid0(VALU_DEP_1) | instskip(SKIP_3) | instid1(SALU_CYCLE_1)
	v_mov_b32_e32 v12, v11
	s_waitcnt lgkmcnt(0)
	s_cmp_lg_u32 s4, 1
	s_cselect_b32 s11, -1, 0
	s_and_b32 vcc_lo, exec_lo, s11
	s_cbranch_vccnz .LBB59_7
; %bb.6:
	v_mul_u32_u24_e32 v5, 0x1112, v0
	s_delay_alu instid0(VALU_DEP_1)
	v_bfe_u32 v12, v5, 16, 3
.LBB59_7:
	s_ashr_i32 s9, s8, 31
	v_mov_b32_e32 v5, 0
	s_lshl_b64 s[4:5], s[8:9], 2
	v_mov_b32_e32 v6, 0
	s_add_u32 s2, s2, s4
	s_addc_u32 s3, s3, s5
	s_load_b64 s[12:13], s[2:3], 0x0
	s_load_b64 s[2:3], s[0:1], 0x40
	s_waitcnt lgkmcnt(0)
	s_cmp_ge_i32 s12, s13
	s_cbranch_scc1 .LBB59_12
; %bb.8:
	s_clause 0x1
	s_load_b128 s[4:7], s[0:1], 0x18
	s_load_b64 s[0:1], s[0:1], 0x30
	v_mad_u64_u32 v[5:6], null, 0x78, s12, v[0:1]
	v_mul_u32_u24_e32 v6, 0x223, v0
	s_mul_i32 s9, s10, 0x78
	s_sub_i32 s12, s12, s10
	v_mov_b32_e32 v8, 0
	s_delay_alu instid0(VALU_DEP_2) | instskip(NEXT) | instid1(VALU_DEP_4)
	v_lshrrev_b32_e32 v13, 16, v6
	v_subrev_nc_u32_e32 v7, s9, v5
	v_mov_b32_e32 v5, 0
	v_mov_b32_e32 v6, 0
	s_sub_i32 s9, s13, s10
	s_set_inst_prefetch_distance 0x1
	s_branch .LBB59_10
	.p2align	6
.LBB59_9:                               ;   in Loop: Header=BB59_10 Depth=1
	s_or_b32 exec_lo, exec_lo, s13
	v_add_nc_u32_e32 v7, 0x78, v7
	s_add_i32 s12, s12, 1
	s_delay_alu instid0(SALU_CYCLE_1)
	s_cmp_ge_i32 s12, s9
	s_cbranch_scc1 .LBB59_12
.LBB59_10:                              ; =>This Inner Loop Header: Depth=1
	v_add_nc_u32_e32 v9, s12, v13
	s_mov_b32 s13, exec_lo
	s_delay_alu instid0(VALU_DEP_1)
	v_cmpx_gt_i32_e64 s9, v9
	s_cbranch_execz .LBB59_9
; %bb.11:                               ;   in Loop: Header=BB59_10 Depth=1
	v_ashrrev_i32_e32 v10, 31, v9
	v_lshlrev_b64 v[14:15], 3, v[7:8]
	s_delay_alu instid0(VALU_DEP_2) | instskip(SKIP_1) | instid1(VALU_DEP_1)
	v_lshlrev_b64 v[9:10], 2, v[9:10]
	s_waitcnt lgkmcnt(0)
	v_add_co_u32 v9, vcc_lo, s4, v9
	s_delay_alu instid0(VALU_DEP_2) | instskip(NEXT) | instid1(VALU_DEP_4)
	v_add_co_ci_u32_e32 v10, vcc_lo, s5, v10, vcc_lo
	v_add_co_u32 v14, vcc_lo, s6, v14
	v_add_co_ci_u32_e32 v15, vcc_lo, s7, v15, vcc_lo
	global_load_b32 v9, v[9:10], off
	s_waitcnt vmcnt(0)
	v_subrev_nc_u32_e32 v9, s10, v9
	s_delay_alu instid0(VALU_DEP_1) | instskip(NEXT) | instid1(VALU_DEP_1)
	v_lshl_or_b32 v9, v9, 3, v12
	v_ashrrev_i32_e32 v10, 31, v9
	s_delay_alu instid0(VALU_DEP_1) | instskip(NEXT) | instid1(VALU_DEP_1)
	v_lshlrev_b64 v[9:10], 3, v[9:10]
	v_add_co_u32 v9, vcc_lo, s0, v9
	s_delay_alu instid0(VALU_DEP_2)
	v_add_co_ci_u32_e32 v10, vcc_lo, s1, v10, vcc_lo
	global_load_b64 v[14:15], v[14:15], off
	global_load_b64 v[9:10], v[9:10], off
	s_waitcnt vmcnt(0)
	v_fma_f64 v[5:6], v[14:15], v[9:10], v[5:6]
	s_branch .LBB59_9
.LBB59_12:
	s_set_inst_prefetch_distance 0x2
	v_lshlrev_b32_e32 v9, 3, v0
	s_and_b32 vcc_lo, exec_lo, s11
	ds_store_b64 v9, v[5:6]
	s_waitcnt lgkmcnt(0)
	s_barrier
	buffer_gl0_inv
	s_cbranch_vccz .LBB59_22
; %bb.13:
	s_mov_b32 s0, exec_lo
	v_cmpx_gt_u32_e32 4, v11
	s_cbranch_execz .LBB59_15
; %bb.14:
	ds_load_2addr_b64 v[12:15], v9 offset1:4
	s_waitcnt lgkmcnt(0)
	v_add_f64 v[7:8], v[14:15], v[12:13]
	ds_store_b64 v9, v[7:8]
.LBB59_15:
	s_or_b32 exec_lo, exec_lo, s0
	s_delay_alu instid0(SALU_CYCLE_1)
	s_mov_b32 s0, exec_lo
	s_waitcnt lgkmcnt(0)
	s_barrier
	buffer_gl0_inv
	v_cmpx_gt_u32_e32 2, v11
	s_cbranch_execz .LBB59_17
; %bb.16:
	ds_load_2addr_b64 v[12:15], v9 offset1:2
	s_waitcnt lgkmcnt(0)
	v_add_f64 v[7:8], v[14:15], v[12:13]
	ds_store_b64 v9, v[7:8]
.LBB59_17:
	s_or_b32 exec_lo, exec_lo, s0
	s_delay_alu instid0(SALU_CYCLE_1)
	s_mov_b32 s0, exec_lo
	s_waitcnt lgkmcnt(0)
	s_barrier
	buffer_gl0_inv
	v_cmpx_eq_u32_e32 0, v11
	s_cbranch_execz .LBB59_19
; %bb.18:
	ds_load_2addr_b64 v[10:13], v9 offset1:1
	s_waitcnt lgkmcnt(0)
	v_add_f64 v[7:8], v[12:13], v[10:11]
	ds_store_b64 v9, v[7:8]
.LBB59_19:
	s_or_b32 exec_lo, exec_lo, s0
	v_dual_mov_b32 v8, v6 :: v_dual_mov_b32 v7, v5
	s_mov_b32 s0, exec_lo
	s_waitcnt lgkmcnt(0)
	s_barrier
	buffer_gl0_inv
	v_cmpx_gt_u32_e32 15, v0
	s_cbranch_execz .LBB59_21
; %bb.20:
	v_mad_u32_u24 v7, v0, 56, v9
	ds_load_b64 v[7:8], v7
.LBB59_21:
	s_or_b32 exec_lo, exec_lo, s0
	s_branch .LBB59_32
.LBB59_22:
                                        ; implicit-def: $vgpr7_vgpr8
	s_cbranch_execz .LBB59_32
; %bb.23:
	s_mov_b32 s0, exec_lo
	v_cmpx_gt_u32_e32 60, v0
	s_cbranch_execz .LBB59_25
; %bb.24:
	ds_load_2addr_b64 v[10:13], v9 offset1:60
	s_waitcnt lgkmcnt(0)
	v_add_f64 v[7:8], v[12:13], v[10:11]
	ds_store_b64 v9, v[7:8]
.LBB59_25:
	s_or_b32 exec_lo, exec_lo, s0
	s_delay_alu instid0(SALU_CYCLE_1)
	s_mov_b32 s0, exec_lo
	s_waitcnt lgkmcnt(0)
	s_barrier
	buffer_gl0_inv
	v_cmpx_gt_u32_e32 30, v0
	s_cbranch_execz .LBB59_27
; %bb.26:
	ds_load_2addr_b64 v[10:13], v9 offset1:30
	s_waitcnt lgkmcnt(0)
	v_add_f64 v[7:8], v[12:13], v[10:11]
	ds_store_b64 v9, v[7:8]
.LBB59_27:
	s_or_b32 exec_lo, exec_lo, s0
	s_delay_alu instid0(SALU_CYCLE_1)
	s_mov_b32 s0, exec_lo
	s_waitcnt lgkmcnt(0)
	buffer_gl0_inv
	v_cmpx_lt_u32_e32 14, v0
	s_xor_b32 s0, exec_lo, s0
	s_cbranch_execz .LBB59_29
; %bb.28:
	buffer_gl0_inv
                                        ; implicit-def: $vgpr9
.LBB59_29:
	s_and_not1_saveexec_b32 s0, s0
	s_cbranch_execz .LBB59_31
; %bb.30:
	ds_load_2addr_b64 v[5:8], v9 offset1:15
	s_waitcnt lgkmcnt(0)
	v_add_f64 v[5:6], v[7:8], v[5:6]
	ds_store_b64 v9, v[5:6]
	s_waitcnt lgkmcnt(0)
	buffer_gl0_inv
	ds_load_b64 v[5:6], v9
.LBB59_31:
	s_or_b32 exec_lo, exec_lo, s0
	s_waitcnt lgkmcnt(0)
	v_dual_mov_b32 v8, v6 :: v_dual_mov_b32 v7, v5
.LBB59_32:
	v_cmp_gt_u32_e32 vcc_lo, 15, v0
	s_and_b32 exec_lo, exec_lo, vcc_lo
	s_cbranch_execz .LBB59_37
; %bb.33:
	s_waitcnt lgkmcnt(0)
	v_mul_f64 v[3:4], v[3:4], v[7:8]
	s_mov_b32 s0, exec_lo
	v_cmpx_eq_f64_e32 0, v[1:2]
	s_xor_b32 s0, exec_lo, s0
	s_cbranch_execz .LBB59_35
; %bb.34:
	v_mad_u64_u32 v[1:2], null, s8, 15, v[0:1]
	v_mov_b32_e32 v2, 0
	s_delay_alu instid0(VALU_DEP_1) | instskip(NEXT) | instid1(VALU_DEP_1)
	v_lshlrev_b64 v[0:1], 3, v[1:2]
	v_add_co_u32 v0, vcc_lo, s2, v0
	s_delay_alu instid0(VALU_DEP_2)
	v_add_co_ci_u32_e32 v1, vcc_lo, s3, v1, vcc_lo
	global_store_b64 v[0:1], v[3:4], off
                                        ; implicit-def: $vgpr0
                                        ; implicit-def: $vgpr1_vgpr2
                                        ; implicit-def: $vgpr3_vgpr4
.LBB59_35:
	s_and_not1_saveexec_b32 s0, s0
	s_cbranch_execz .LBB59_37
; %bb.36:
	v_mad_u64_u32 v[5:6], null, s8, 15, v[0:1]
	v_mov_b32_e32 v6, 0
	s_delay_alu instid0(VALU_DEP_1) | instskip(NEXT) | instid1(VALU_DEP_1)
	v_lshlrev_b64 v[5:6], 3, v[5:6]
	v_add_co_u32 v5, vcc_lo, s2, v5
	s_delay_alu instid0(VALU_DEP_2)
	v_add_co_ci_u32_e32 v6, vcc_lo, s3, v6, vcc_lo
	global_load_b64 v[7:8], v[5:6], off
	s_waitcnt vmcnt(0)
	v_fma_f64 v[0:1], v[1:2], v[7:8], v[3:4]
	global_store_b64 v[5:6], v[0:1], off
.LBB59_37:
	s_nop 0
	s_sendmsg sendmsg(MSG_DEALLOC_VGPRS)
	s_endpgm
	.section	.rodata,"a",@progbits
	.p2align	6, 0x0
	.amdhsa_kernel _ZN9rocsparseL22gebsrmvn_mxn_16_kernelILj120ELj15ELj8EdEEvi20rocsparse_direction_NS_24const_host_device_scalarIT2_EEPKiS6_PKS3_iiS8_S4_PS3_21rocsparse_index_base_b
		.amdhsa_group_segment_fixed_size 960
		.amdhsa_private_segment_fixed_size 0
		.amdhsa_kernarg_size 80
		.amdhsa_user_sgpr_count 15
		.amdhsa_user_sgpr_dispatch_ptr 0
		.amdhsa_user_sgpr_queue_ptr 0
		.amdhsa_user_sgpr_kernarg_segment_ptr 1
		.amdhsa_user_sgpr_dispatch_id 0
		.amdhsa_user_sgpr_private_segment_size 0
		.amdhsa_wavefront_size32 1
		.amdhsa_uses_dynamic_stack 0
		.amdhsa_enable_private_segment 0
		.amdhsa_system_sgpr_workgroup_id_x 1
		.amdhsa_system_sgpr_workgroup_id_y 0
		.amdhsa_system_sgpr_workgroup_id_z 0
		.amdhsa_system_sgpr_workgroup_info 0
		.amdhsa_system_vgpr_workitem_id 0
		.amdhsa_next_free_vgpr 16
		.amdhsa_next_free_sgpr 16
		.amdhsa_reserve_vcc 1
		.amdhsa_float_round_mode_32 0
		.amdhsa_float_round_mode_16_64 0
		.amdhsa_float_denorm_mode_32 3
		.amdhsa_float_denorm_mode_16_64 3
		.amdhsa_dx10_clamp 1
		.amdhsa_ieee_mode 1
		.amdhsa_fp16_overflow 0
		.amdhsa_workgroup_processor_mode 1
		.amdhsa_memory_ordered 1
		.amdhsa_forward_progress 0
		.amdhsa_shared_vgpr_count 0
		.amdhsa_exception_fp_ieee_invalid_op 0
		.amdhsa_exception_fp_denorm_src 0
		.amdhsa_exception_fp_ieee_div_zero 0
		.amdhsa_exception_fp_ieee_overflow 0
		.amdhsa_exception_fp_ieee_underflow 0
		.amdhsa_exception_fp_ieee_inexact 0
		.amdhsa_exception_int_div_zero 0
	.end_amdhsa_kernel
	.section	.text._ZN9rocsparseL22gebsrmvn_mxn_16_kernelILj120ELj15ELj8EdEEvi20rocsparse_direction_NS_24const_host_device_scalarIT2_EEPKiS6_PKS3_iiS8_S4_PS3_21rocsparse_index_base_b,"axG",@progbits,_ZN9rocsparseL22gebsrmvn_mxn_16_kernelILj120ELj15ELj8EdEEvi20rocsparse_direction_NS_24const_host_device_scalarIT2_EEPKiS6_PKS3_iiS8_S4_PS3_21rocsparse_index_base_b,comdat
.Lfunc_end59:
	.size	_ZN9rocsparseL22gebsrmvn_mxn_16_kernelILj120ELj15ELj8EdEEvi20rocsparse_direction_NS_24const_host_device_scalarIT2_EEPKiS6_PKS3_iiS8_S4_PS3_21rocsparse_index_base_b, .Lfunc_end59-_ZN9rocsparseL22gebsrmvn_mxn_16_kernelILj120ELj15ELj8EdEEvi20rocsparse_direction_NS_24const_host_device_scalarIT2_EEPKiS6_PKS3_iiS8_S4_PS3_21rocsparse_index_base_b
                                        ; -- End function
	.section	.AMDGPU.csdata,"",@progbits
; Kernel info:
; codeLenInByte = 1232
; NumSgprs: 18
; NumVgprs: 16
; ScratchSize: 0
; MemoryBound: 0
; FloatMode: 240
; IeeeMode: 1
; LDSByteSize: 960 bytes/workgroup (compile time only)
; SGPRBlocks: 2
; VGPRBlocks: 1
; NumSGPRsForWavesPerEU: 18
; NumVGPRsForWavesPerEU: 16
; Occupancy: 16
; WaveLimiterHint : 1
; COMPUTE_PGM_RSRC2:SCRATCH_EN: 0
; COMPUTE_PGM_RSRC2:USER_SGPR: 15
; COMPUTE_PGM_RSRC2:TRAP_HANDLER: 0
; COMPUTE_PGM_RSRC2:TGID_X_EN: 1
; COMPUTE_PGM_RSRC2:TGID_Y_EN: 0
; COMPUTE_PGM_RSRC2:TGID_Z_EN: 0
; COMPUTE_PGM_RSRC2:TIDIG_COMP_CNT: 0
	.section	.text._ZN9rocsparseL22gebsrmvn_mxn_16_kernelILj64ELj16ELj1EdEEvi20rocsparse_direction_NS_24const_host_device_scalarIT2_EEPKiS6_PKS3_iiS8_S4_PS3_21rocsparse_index_base_b,"axG",@progbits,_ZN9rocsparseL22gebsrmvn_mxn_16_kernelILj64ELj16ELj1EdEEvi20rocsparse_direction_NS_24const_host_device_scalarIT2_EEPKiS6_PKS3_iiS8_S4_PS3_21rocsparse_index_base_b,comdat
	.globl	_ZN9rocsparseL22gebsrmvn_mxn_16_kernelILj64ELj16ELj1EdEEvi20rocsparse_direction_NS_24const_host_device_scalarIT2_EEPKiS6_PKS3_iiS8_S4_PS3_21rocsparse_index_base_b ; -- Begin function _ZN9rocsparseL22gebsrmvn_mxn_16_kernelILj64ELj16ELj1EdEEvi20rocsparse_direction_NS_24const_host_device_scalarIT2_EEPKiS6_PKS3_iiS8_S4_PS3_21rocsparse_index_base_b
	.p2align	8
	.type	_ZN9rocsparseL22gebsrmvn_mxn_16_kernelILj64ELj16ELj1EdEEvi20rocsparse_direction_NS_24const_host_device_scalarIT2_EEPKiS6_PKS3_iiS8_S4_PS3_21rocsparse_index_base_b,@function
_ZN9rocsparseL22gebsrmvn_mxn_16_kernelILj64ELj16ELj1EdEEvi20rocsparse_direction_NS_24const_host_device_scalarIT2_EEPKiS6_PKS3_iiS8_S4_PS3_21rocsparse_index_base_b: ; @_ZN9rocsparseL22gebsrmvn_mxn_16_kernelILj64ELj16ELj1EdEEvi20rocsparse_direction_NS_24const_host_device_scalarIT2_EEPKiS6_PKS3_iiS8_S4_PS3_21rocsparse_index_base_b
; %bb.0:
	s_clause 0x2
	s_load_b64 s[10:11], s[0:1], 0x48
	s_load_b64 s[4:5], s[0:1], 0x8
	;; [unrolled: 1-line block ×3, first 2 shown]
	s_mov_b32 s8, s15
	s_waitcnt lgkmcnt(0)
	s_bitcmp1_b32 s11, 0
	v_dual_mov_b32 v3, s4 :: v_dual_mov_b32 v4, s5
	s_cselect_b32 s6, -1, 0
	s_delay_alu instid0(SALU_CYCLE_1)
	s_and_b32 vcc_lo, exec_lo, s6
	s_xor_b32 s6, s6, -1
	s_cbranch_vccnz .LBB60_2
; %bb.1:
	v_dual_mov_b32 v1, s4 :: v_dual_mov_b32 v2, s5
	flat_load_b64 v[3:4], v[1:2]
.LBB60_2:
	v_dual_mov_b32 v1, s2 :: v_dual_mov_b32 v2, s3
	s_and_not1_b32 vcc_lo, exec_lo, s6
	s_cbranch_vccnz .LBB60_4
; %bb.3:
	v_dual_mov_b32 v1, s2 :: v_dual_mov_b32 v2, s3
	flat_load_b64 v[1:2], v[1:2]
.LBB60_4:
	s_waitcnt vmcnt(0) lgkmcnt(0)
	v_cmp_neq_f64_e32 vcc_lo, 0, v[3:4]
	v_cmp_neq_f64_e64 s2, 1.0, v[1:2]
	s_delay_alu instid0(VALU_DEP_1) | instskip(NEXT) | instid1(SALU_CYCLE_1)
	s_or_b32 s2, vcc_lo, s2
	s_and_saveexec_b32 s3, s2
	s_cbranch_execz .LBB60_24
; %bb.5:
	s_load_b64 s[2:3], s[0:1], 0x10
	s_ashr_i32 s9, s8, 31
	s_delay_alu instid0(SALU_CYCLE_1)
	s_lshl_b64 s[4:5], s[8:9], 2
	s_waitcnt lgkmcnt(0)
	s_add_u32 s2, s2, s4
	s_addc_u32 s3, s3, s5
	s_load_b64 s[12:13], s[2:3], 0x0
	s_waitcnt lgkmcnt(0)
	s_cmp_lt_i32 s12, s13
	s_cbranch_scc1 .LBB60_7
; %bb.6:
	s_mov_b32 s6, 0
	s_mov_b64 s[4:5], 0
	s_branch .LBB60_8
.LBB60_7:
	s_mov_b32 s6, -1
                                        ; implicit-def: $sgpr4_sgpr5
.LBB60_8:
	s_load_b64 s[2:3], s[0:1], 0x40
	v_dual_mov_b32 v6, s5 :: v_dual_mov_b32 v5, s4
	s_and_not1_b32 vcc_lo, exec_lo, s6
	s_cbranch_vccnz .LBB60_13
; %bb.9:
	s_clause 0x1
	s_load_b128 s[4:7], s[0:1], 0x18
	s_load_b64 s[0:1], s[0:1], 0x30
	v_lshl_add_u32 v5, s12, 4, v0
	s_lshl_b32 s9, s10, 4
	v_lshrrev_b32_e32 v11, 4, v0
	s_sub_i32 s11, s12, s10
	v_mov_b32_e32 v8, 0
	v_subrev_nc_u32_e32 v7, s9, v5
	v_mov_b32_e32 v5, 0
	v_mov_b32_e32 v6, 0
	s_sub_i32 s9, s13, s10
	s_set_inst_prefetch_distance 0x1
	s_branch .LBB60_11
	.p2align	6
.LBB60_10:                              ;   in Loop: Header=BB60_11 Depth=1
	s_or_b32 exec_lo, exec_lo, s12
	v_add_nc_u32_e32 v7, 64, v7
	s_add_i32 s11, s11, 4
	s_delay_alu instid0(SALU_CYCLE_1)
	s_cmp_ge_i32 s11, s9
	s_cbranch_scc1 .LBB60_13
.LBB60_11:                              ; =>This Inner Loop Header: Depth=1
	v_add_nc_u32_e32 v9, s11, v11
	s_mov_b32 s12, exec_lo
	s_delay_alu instid0(VALU_DEP_1)
	v_cmpx_gt_i32_e64 s9, v9
	s_cbranch_execz .LBB60_10
; %bb.12:                               ;   in Loop: Header=BB60_11 Depth=1
	v_ashrrev_i32_e32 v10, 31, v9
	v_lshlrev_b64 v[12:13], 3, v[7:8]
	s_delay_alu instid0(VALU_DEP_2) | instskip(SKIP_1) | instid1(VALU_DEP_1)
	v_lshlrev_b64 v[9:10], 2, v[9:10]
	s_waitcnt lgkmcnt(0)
	v_add_co_u32 v9, vcc_lo, s4, v9
	s_delay_alu instid0(VALU_DEP_2) | instskip(NEXT) | instid1(VALU_DEP_4)
	v_add_co_ci_u32_e32 v10, vcc_lo, s5, v10, vcc_lo
	v_add_co_u32 v12, vcc_lo, s6, v12
	v_add_co_ci_u32_e32 v13, vcc_lo, s7, v13, vcc_lo
	global_load_b32 v9, v[9:10], off
	s_waitcnt vmcnt(0)
	v_subrev_nc_u32_e32 v9, s10, v9
	s_delay_alu instid0(VALU_DEP_1) | instskip(NEXT) | instid1(VALU_DEP_1)
	v_ashrrev_i32_e32 v10, 31, v9
	v_lshlrev_b64 v[9:10], 3, v[9:10]
	s_delay_alu instid0(VALU_DEP_1) | instskip(NEXT) | instid1(VALU_DEP_2)
	v_add_co_u32 v9, vcc_lo, s0, v9
	v_add_co_ci_u32_e32 v10, vcc_lo, s1, v10, vcc_lo
	global_load_b64 v[12:13], v[12:13], off
	global_load_b64 v[9:10], v[9:10], off
	s_waitcnt vmcnt(0)
	v_fma_f64 v[5:6], v[12:13], v[9:10], v[5:6]
	s_branch .LBB60_10
.LBB60_13:
	s_set_inst_prefetch_distance 0x2
	v_lshlrev_b32_e32 v7, 3, v0
	s_waitcnt lgkmcnt(0)
	s_mov_b32 s0, exec_lo
	ds_store_b64 v7, v[5:6]
	s_waitcnt lgkmcnt(0)
	s_barrier
	buffer_gl0_inv
	v_cmpx_gt_u32_e32 32, v0
	s_cbranch_execz .LBB60_15
; %bb.14:
	ds_load_2addr_b64 v[8:11], v7 offset1:32
	s_waitcnt lgkmcnt(0)
	v_add_f64 v[8:9], v[10:11], v[8:9]
	ds_store_b64 v7, v[8:9]
.LBB60_15:
	s_or_b32 exec_lo, exec_lo, s0
	v_cmp_gt_u32_e32 vcc_lo, 16, v0
	s_waitcnt lgkmcnt(0)
	s_barrier
	buffer_gl0_inv
	s_and_saveexec_b32 s0, vcc_lo
	s_cbranch_execz .LBB60_17
; %bb.16:
	ds_load_2addr_b64 v[8:11], v7 offset1:16
	s_waitcnt lgkmcnt(0)
	v_add_f64 v[8:9], v[10:11], v[8:9]
	ds_store_b64 v7, v[8:9]
.LBB60_17:
	s_or_b32 exec_lo, exec_lo, s0
	s_waitcnt lgkmcnt(0)
	s_barrier
	buffer_gl0_inv
	s_and_saveexec_b32 s0, vcc_lo
	s_cbranch_execz .LBB60_19
; %bb.18:
	ds_load_b64 v[5:6], v7
.LBB60_19:
	s_or_b32 exec_lo, exec_lo, s0
	s_delay_alu instid0(SALU_CYCLE_1)
	s_and_b32 exec_lo, exec_lo, vcc_lo
	s_cbranch_execz .LBB60_24
; %bb.20:
	s_waitcnt lgkmcnt(0)
	v_mul_f64 v[3:4], v[3:4], v[5:6]
	v_lshl_or_b32 v5, s8, 4, v0
	s_mov_b32 s0, exec_lo
	v_cmpx_eq_f64_e32 0, v[1:2]
	s_xor_b32 s0, exec_lo, s0
	s_cbranch_execz .LBB60_22
; %bb.21:
	v_mov_b32_e32 v6, 0
	s_delay_alu instid0(VALU_DEP_1) | instskip(NEXT) | instid1(VALU_DEP_1)
	v_lshlrev_b64 v[0:1], 3, v[5:6]
                                        ; implicit-def: $vgpr5
	v_add_co_u32 v0, vcc_lo, s2, v0
	s_delay_alu instid0(VALU_DEP_2)
	v_add_co_ci_u32_e32 v1, vcc_lo, s3, v1, vcc_lo
	global_store_b64 v[0:1], v[3:4], off
                                        ; implicit-def: $vgpr1_vgpr2
                                        ; implicit-def: $vgpr3_vgpr4
.LBB60_22:
	s_and_not1_saveexec_b32 s0, s0
	s_cbranch_execz .LBB60_24
; %bb.23:
	v_mov_b32_e32 v6, 0
	s_delay_alu instid0(VALU_DEP_1) | instskip(NEXT) | instid1(VALU_DEP_1)
	v_lshlrev_b64 v[5:6], 3, v[5:6]
	v_add_co_u32 v5, vcc_lo, s2, v5
	s_delay_alu instid0(VALU_DEP_2)
	v_add_co_ci_u32_e32 v6, vcc_lo, s3, v6, vcc_lo
	global_load_b64 v[7:8], v[5:6], off
	s_waitcnt vmcnt(0)
	v_fma_f64 v[0:1], v[1:2], v[7:8], v[3:4]
	global_store_b64 v[5:6], v[0:1], off
.LBB60_24:
	s_nop 0
	s_sendmsg sendmsg(MSG_DEALLOC_VGPRS)
	s_endpgm
	.section	.rodata,"a",@progbits
	.p2align	6, 0x0
	.amdhsa_kernel _ZN9rocsparseL22gebsrmvn_mxn_16_kernelILj64ELj16ELj1EdEEvi20rocsparse_direction_NS_24const_host_device_scalarIT2_EEPKiS6_PKS3_iiS8_S4_PS3_21rocsparse_index_base_b
		.amdhsa_group_segment_fixed_size 512
		.amdhsa_private_segment_fixed_size 0
		.amdhsa_kernarg_size 80
		.amdhsa_user_sgpr_count 15
		.amdhsa_user_sgpr_dispatch_ptr 0
		.amdhsa_user_sgpr_queue_ptr 0
		.amdhsa_user_sgpr_kernarg_segment_ptr 1
		.amdhsa_user_sgpr_dispatch_id 0
		.amdhsa_user_sgpr_private_segment_size 0
		.amdhsa_wavefront_size32 1
		.amdhsa_uses_dynamic_stack 0
		.amdhsa_enable_private_segment 0
		.amdhsa_system_sgpr_workgroup_id_x 1
		.amdhsa_system_sgpr_workgroup_id_y 0
		.amdhsa_system_sgpr_workgroup_id_z 0
		.amdhsa_system_sgpr_workgroup_info 0
		.amdhsa_system_vgpr_workitem_id 0
		.amdhsa_next_free_vgpr 14
		.amdhsa_next_free_sgpr 16
		.amdhsa_reserve_vcc 1
		.amdhsa_float_round_mode_32 0
		.amdhsa_float_round_mode_16_64 0
		.amdhsa_float_denorm_mode_32 3
		.amdhsa_float_denorm_mode_16_64 3
		.amdhsa_dx10_clamp 1
		.amdhsa_ieee_mode 1
		.amdhsa_fp16_overflow 0
		.amdhsa_workgroup_processor_mode 1
		.amdhsa_memory_ordered 1
		.amdhsa_forward_progress 0
		.amdhsa_shared_vgpr_count 0
		.amdhsa_exception_fp_ieee_invalid_op 0
		.amdhsa_exception_fp_denorm_src 0
		.amdhsa_exception_fp_ieee_div_zero 0
		.amdhsa_exception_fp_ieee_overflow 0
		.amdhsa_exception_fp_ieee_underflow 0
		.amdhsa_exception_fp_ieee_inexact 0
		.amdhsa_exception_int_div_zero 0
	.end_amdhsa_kernel
	.section	.text._ZN9rocsparseL22gebsrmvn_mxn_16_kernelILj64ELj16ELj1EdEEvi20rocsparse_direction_NS_24const_host_device_scalarIT2_EEPKiS6_PKS3_iiS8_S4_PS3_21rocsparse_index_base_b,"axG",@progbits,_ZN9rocsparseL22gebsrmvn_mxn_16_kernelILj64ELj16ELj1EdEEvi20rocsparse_direction_NS_24const_host_device_scalarIT2_EEPKiS6_PKS3_iiS8_S4_PS3_21rocsparse_index_base_b,comdat
.Lfunc_end60:
	.size	_ZN9rocsparseL22gebsrmvn_mxn_16_kernelILj64ELj16ELj1EdEEvi20rocsparse_direction_NS_24const_host_device_scalarIT2_EEPKiS6_PKS3_iiS8_S4_PS3_21rocsparse_index_base_b, .Lfunc_end60-_ZN9rocsparseL22gebsrmvn_mxn_16_kernelILj64ELj16ELj1EdEEvi20rocsparse_direction_NS_24const_host_device_scalarIT2_EEPKiS6_PKS3_iiS8_S4_PS3_21rocsparse_index_base_b
                                        ; -- End function
	.section	.AMDGPU.csdata,"",@progbits
; Kernel info:
; codeLenInByte = 836
; NumSgprs: 18
; NumVgprs: 14
; ScratchSize: 0
; MemoryBound: 0
; FloatMode: 240
; IeeeMode: 1
; LDSByteSize: 512 bytes/workgroup (compile time only)
; SGPRBlocks: 2
; VGPRBlocks: 1
; NumSGPRsForWavesPerEU: 18
; NumVGPRsForWavesPerEU: 14
; Occupancy: 16
; WaveLimiterHint : 1
; COMPUTE_PGM_RSRC2:SCRATCH_EN: 0
; COMPUTE_PGM_RSRC2:USER_SGPR: 15
; COMPUTE_PGM_RSRC2:TRAP_HANDLER: 0
; COMPUTE_PGM_RSRC2:TGID_X_EN: 1
; COMPUTE_PGM_RSRC2:TGID_Y_EN: 0
; COMPUTE_PGM_RSRC2:TGID_Z_EN: 0
; COMPUTE_PGM_RSRC2:TIDIG_COMP_CNT: 0
	.section	.text._ZN9rocsparseL22gebsrmvn_mxn_16_kernelILj64ELj16ELj2EdEEvi20rocsparse_direction_NS_24const_host_device_scalarIT2_EEPKiS6_PKS3_iiS8_S4_PS3_21rocsparse_index_base_b,"axG",@progbits,_ZN9rocsparseL22gebsrmvn_mxn_16_kernelILj64ELj16ELj2EdEEvi20rocsparse_direction_NS_24const_host_device_scalarIT2_EEPKiS6_PKS3_iiS8_S4_PS3_21rocsparse_index_base_b,comdat
	.globl	_ZN9rocsparseL22gebsrmvn_mxn_16_kernelILj64ELj16ELj2EdEEvi20rocsparse_direction_NS_24const_host_device_scalarIT2_EEPKiS6_PKS3_iiS8_S4_PS3_21rocsparse_index_base_b ; -- Begin function _ZN9rocsparseL22gebsrmvn_mxn_16_kernelILj64ELj16ELj2EdEEvi20rocsparse_direction_NS_24const_host_device_scalarIT2_EEPKiS6_PKS3_iiS8_S4_PS3_21rocsparse_index_base_b
	.p2align	8
	.type	_ZN9rocsparseL22gebsrmvn_mxn_16_kernelILj64ELj16ELj2EdEEvi20rocsparse_direction_NS_24const_host_device_scalarIT2_EEPKiS6_PKS3_iiS8_S4_PS3_21rocsparse_index_base_b,@function
_ZN9rocsparseL22gebsrmvn_mxn_16_kernelILj64ELj16ELj2EdEEvi20rocsparse_direction_NS_24const_host_device_scalarIT2_EEPKiS6_PKS3_iiS8_S4_PS3_21rocsparse_index_base_b: ; @_ZN9rocsparseL22gebsrmvn_mxn_16_kernelILj64ELj16ELj2EdEEvi20rocsparse_direction_NS_24const_host_device_scalarIT2_EEPKiS6_PKS3_iiS8_S4_PS3_21rocsparse_index_base_b
; %bb.0:
	s_clause 0x2
	s_load_b64 s[10:11], s[0:1], 0x48
	s_load_b64 s[4:5], s[0:1], 0x8
	s_load_b64 s[2:3], s[0:1], 0x38
	s_mov_b32 s8, s15
	s_waitcnt lgkmcnt(0)
	s_bitcmp1_b32 s11, 0
	v_dual_mov_b32 v3, s4 :: v_dual_mov_b32 v4, s5
	s_cselect_b32 s6, -1, 0
	s_delay_alu instid0(SALU_CYCLE_1)
	s_and_b32 vcc_lo, exec_lo, s6
	s_xor_b32 s6, s6, -1
	s_cbranch_vccnz .LBB61_2
; %bb.1:
	v_dual_mov_b32 v1, s4 :: v_dual_mov_b32 v2, s5
	flat_load_b64 v[3:4], v[1:2]
.LBB61_2:
	v_dual_mov_b32 v1, s2 :: v_dual_mov_b32 v2, s3
	s_and_not1_b32 vcc_lo, exec_lo, s6
	s_cbranch_vccnz .LBB61_4
; %bb.3:
	v_dual_mov_b32 v1, s2 :: v_dual_mov_b32 v2, s3
	flat_load_b64 v[1:2], v[1:2]
.LBB61_4:
	s_waitcnt vmcnt(0) lgkmcnt(0)
	v_cmp_neq_f64_e32 vcc_lo, 0, v[3:4]
	v_cmp_neq_f64_e64 s2, 1.0, v[1:2]
	s_delay_alu instid0(VALU_DEP_1) | instskip(NEXT) | instid1(SALU_CYCLE_1)
	s_or_b32 s2, vcc_lo, s2
	s_and_saveexec_b32 s3, s2
	s_cbranch_execz .LBB61_29
; %bb.5:
	s_clause 0x2
	s_load_b64 s[2:3], s[0:1], 0x40
	s_load_b32 s6, s[0:1], 0x4
	s_load_b64 s[4:5], s[0:1], 0x10
	v_mov_b32_e32 v5, 0
	v_dual_mov_b32 v6, 0 :: v_dual_and_b32 v11, 1, v0
	s_waitcnt lgkmcnt(0)
	s_cmp_eq_u32 s6, 1
	s_cselect_b32 vcc_lo, -1, 0
	s_cmp_lg_u32 s6, 1
	s_cselect_b32 s11, -1, 0
	s_ashr_i32 s9, s8, 31
	s_delay_alu instid0(SALU_CYCLE_1) | instskip(NEXT) | instid1(SALU_CYCLE_1)
	s_lshl_b64 s[6:7], s[8:9], 2
	s_add_u32 s4, s4, s6
	s_addc_u32 s5, s5, s7
	s_load_b64 s[12:13], s[4:5], 0x0
	s_waitcnt lgkmcnt(0)
	s_cmp_ge_i32 s12, s13
	s_cbranch_scc1 .LBB61_10
; %bb.6:
	s_clause 0x1
	s_load_b128 s[4:7], s[0:1], 0x18
	s_load_b64 s[0:1], s[0:1], 0x30
	v_bfe_u32 v5, v0, 4, 1
	v_lshl_add_u32 v6, s12, 5, v0
	s_lshl_b32 s9, s10, 5
	v_lshrrev_b32_e32 v13, 5, v0
	v_mov_b32_e32 v8, 0
	v_cndmask_b32_e32 v12, v11, v5, vcc_lo
	v_subrev_nc_u32_e32 v7, s9, v6
	v_mov_b32_e32 v5, 0
	v_mov_b32_e32 v6, 0
	s_sub_i32 s9, s13, s10
	s_sub_i32 s12, s12, s10
	s_set_inst_prefetch_distance 0x1
	s_branch .LBB61_8
	.p2align	6
.LBB61_7:                               ;   in Loop: Header=BB61_8 Depth=1
	s_or_b32 exec_lo, exec_lo, s13
	v_add_nc_u32_e32 v7, 64, v7
	s_add_i32 s12, s12, 2
	s_delay_alu instid0(SALU_CYCLE_1)
	s_cmp_ge_i32 s12, s9
	s_cbranch_scc1 .LBB61_10
.LBB61_8:                               ; =>This Inner Loop Header: Depth=1
	v_add_nc_u32_e32 v9, s12, v13
	s_mov_b32 s13, exec_lo
	s_delay_alu instid0(VALU_DEP_1)
	v_cmpx_gt_i32_e64 s9, v9
	s_cbranch_execz .LBB61_7
; %bb.9:                                ;   in Loop: Header=BB61_8 Depth=1
	v_ashrrev_i32_e32 v10, 31, v9
	v_lshlrev_b64 v[14:15], 3, v[7:8]
	s_delay_alu instid0(VALU_DEP_2) | instskip(SKIP_1) | instid1(VALU_DEP_1)
	v_lshlrev_b64 v[9:10], 2, v[9:10]
	s_waitcnt lgkmcnt(0)
	v_add_co_u32 v9, vcc_lo, s4, v9
	s_delay_alu instid0(VALU_DEP_2) | instskip(NEXT) | instid1(VALU_DEP_4)
	v_add_co_ci_u32_e32 v10, vcc_lo, s5, v10, vcc_lo
	v_add_co_u32 v14, vcc_lo, s6, v14
	v_add_co_ci_u32_e32 v15, vcc_lo, s7, v15, vcc_lo
	global_load_b32 v9, v[9:10], off
	s_waitcnt vmcnt(0)
	v_subrev_nc_u32_e32 v9, s10, v9
	s_delay_alu instid0(VALU_DEP_1) | instskip(NEXT) | instid1(VALU_DEP_1)
	v_lshl_or_b32 v9, v9, 1, v12
	v_ashrrev_i32_e32 v10, 31, v9
	s_delay_alu instid0(VALU_DEP_1) | instskip(NEXT) | instid1(VALU_DEP_1)
	v_lshlrev_b64 v[9:10], 3, v[9:10]
	v_add_co_u32 v9, vcc_lo, s0, v9
	s_delay_alu instid0(VALU_DEP_2)
	v_add_co_ci_u32_e32 v10, vcc_lo, s1, v10, vcc_lo
	global_load_b64 v[14:15], v[14:15], off
	global_load_b64 v[9:10], v[9:10], off
	s_waitcnt vmcnt(0)
	v_fma_f64 v[5:6], v[14:15], v[9:10], v[5:6]
	s_branch .LBB61_7
.LBB61_10:
	s_set_inst_prefetch_distance 0x2
	v_lshlrev_b32_e32 v9, 3, v0
	s_waitcnt lgkmcnt(0)
	s_mov_b32 s0, exec_lo
	ds_store_b64 v9, v[5:6]
	s_waitcnt lgkmcnt(0)
	s_barrier
	buffer_gl0_inv
	v_cmpx_gt_u32_e32 32, v0
	s_cbranch_execz .LBB61_12
; %bb.11:
	ds_load_2addr_b64 v[12:15], v9 offset1:32
	s_waitcnt lgkmcnt(0)
	v_add_f64 v[7:8], v[14:15], v[12:13]
	ds_store_b64 v9, v[7:8]
.LBB61_12:
	s_or_b32 exec_lo, exec_lo, s0
	s_delay_alu instid0(SALU_CYCLE_1)
	s_and_b32 vcc_lo, exec_lo, s11
	s_waitcnt lgkmcnt(0)
	s_barrier
	buffer_gl0_inv
	s_cbranch_vccz .LBB61_18
; %bb.13:
	s_mov_b32 s0, exec_lo
	v_cmpx_eq_u32_e32 0, v11
	s_cbranch_execz .LBB61_15
; %bb.14:
	ds_load_2addr_b64 v[10:13], v9 offset1:1
	s_waitcnt lgkmcnt(0)
	v_add_f64 v[7:8], v[12:13], v[10:11]
	ds_store_b64 v9, v[7:8]
.LBB61_15:
	s_or_b32 exec_lo, exec_lo, s0
	v_dual_mov_b32 v8, v6 :: v_dual_mov_b32 v7, v5
	s_mov_b32 s0, exec_lo
	s_waitcnt lgkmcnt(0)
	s_barrier
	buffer_gl0_inv
	v_cmpx_gt_u32_e32 16, v0
	s_cbranch_execz .LBB61_17
; %bb.16:
	v_lshl_add_u32 v7, v0, 3, v9
	ds_load_b64 v[7:8], v7
.LBB61_17:
	s_or_b32 exec_lo, exec_lo, s0
	s_branch .LBB61_24
.LBB61_18:
                                        ; implicit-def: $vgpr7_vgpr8
	s_cbranch_execz .LBB61_24
; %bb.19:
	s_mov_b32 s0, exec_lo
	v_cmpx_lt_u32_e32 15, v0
	s_xor_b32 s0, exec_lo, s0
	s_cbranch_execz .LBB61_21
; %bb.20:
	s_waitcnt lgkmcnt(0)
	buffer_gl0_inv
                                        ; implicit-def: $vgpr9
.LBB61_21:
	s_and_not1_saveexec_b32 s0, s0
	s_cbranch_execz .LBB61_23
; %bb.22:
	s_waitcnt lgkmcnt(0)
	ds_load_2addr_b64 v[5:8], v9 offset1:16
	s_waitcnt lgkmcnt(0)
	v_add_f64 v[5:6], v[7:8], v[5:6]
	ds_store_b64 v9, v[5:6]
	s_waitcnt lgkmcnt(0)
	buffer_gl0_inv
	ds_load_b64 v[5:6], v9
.LBB61_23:
	s_or_b32 exec_lo, exec_lo, s0
	s_waitcnt lgkmcnt(0)
	v_dual_mov_b32 v8, v6 :: v_dual_mov_b32 v7, v5
.LBB61_24:
	v_cmp_gt_u32_e32 vcc_lo, 16, v0
	s_and_b32 exec_lo, exec_lo, vcc_lo
	s_cbranch_execz .LBB61_29
; %bb.25:
	s_waitcnt lgkmcnt(0)
	v_mul_f64 v[3:4], v[3:4], v[7:8]
	v_lshl_or_b32 v5, s8, 4, v0
	s_mov_b32 s0, exec_lo
	v_cmpx_eq_f64_e32 0, v[1:2]
	s_xor_b32 s0, exec_lo, s0
	s_cbranch_execz .LBB61_27
; %bb.26:
	v_mov_b32_e32 v6, 0
	s_delay_alu instid0(VALU_DEP_1) | instskip(NEXT) | instid1(VALU_DEP_1)
	v_lshlrev_b64 v[0:1], 3, v[5:6]
                                        ; implicit-def: $vgpr5
	v_add_co_u32 v0, vcc_lo, s2, v0
	s_delay_alu instid0(VALU_DEP_2)
	v_add_co_ci_u32_e32 v1, vcc_lo, s3, v1, vcc_lo
	global_store_b64 v[0:1], v[3:4], off
                                        ; implicit-def: $vgpr1_vgpr2
                                        ; implicit-def: $vgpr3_vgpr4
.LBB61_27:
	s_and_not1_saveexec_b32 s0, s0
	s_cbranch_execz .LBB61_29
; %bb.28:
	v_mov_b32_e32 v6, 0
	s_delay_alu instid0(VALU_DEP_1) | instskip(NEXT) | instid1(VALU_DEP_1)
	v_lshlrev_b64 v[5:6], 3, v[5:6]
	v_add_co_u32 v5, vcc_lo, s2, v5
	s_delay_alu instid0(VALU_DEP_2)
	v_add_co_ci_u32_e32 v6, vcc_lo, s3, v6, vcc_lo
	global_load_b64 v[7:8], v[5:6], off
	s_waitcnt vmcnt(0)
	v_fma_f64 v[0:1], v[1:2], v[7:8], v[3:4]
	global_store_b64 v[5:6], v[0:1], off
.LBB61_29:
	s_nop 0
	s_sendmsg sendmsg(MSG_DEALLOC_VGPRS)
	s_endpgm
	.section	.rodata,"a",@progbits
	.p2align	6, 0x0
	.amdhsa_kernel _ZN9rocsparseL22gebsrmvn_mxn_16_kernelILj64ELj16ELj2EdEEvi20rocsparse_direction_NS_24const_host_device_scalarIT2_EEPKiS6_PKS3_iiS8_S4_PS3_21rocsparse_index_base_b
		.amdhsa_group_segment_fixed_size 512
		.amdhsa_private_segment_fixed_size 0
		.amdhsa_kernarg_size 80
		.amdhsa_user_sgpr_count 15
		.amdhsa_user_sgpr_dispatch_ptr 0
		.amdhsa_user_sgpr_queue_ptr 0
		.amdhsa_user_sgpr_kernarg_segment_ptr 1
		.amdhsa_user_sgpr_dispatch_id 0
		.amdhsa_user_sgpr_private_segment_size 0
		.amdhsa_wavefront_size32 1
		.amdhsa_uses_dynamic_stack 0
		.amdhsa_enable_private_segment 0
		.amdhsa_system_sgpr_workgroup_id_x 1
		.amdhsa_system_sgpr_workgroup_id_y 0
		.amdhsa_system_sgpr_workgroup_id_z 0
		.amdhsa_system_sgpr_workgroup_info 0
		.amdhsa_system_vgpr_workitem_id 0
		.amdhsa_next_free_vgpr 16
		.amdhsa_next_free_sgpr 16
		.amdhsa_reserve_vcc 1
		.amdhsa_float_round_mode_32 0
		.amdhsa_float_round_mode_16_64 0
		.amdhsa_float_denorm_mode_32 3
		.amdhsa_float_denorm_mode_16_64 3
		.amdhsa_dx10_clamp 1
		.amdhsa_ieee_mode 1
		.amdhsa_fp16_overflow 0
		.amdhsa_workgroup_processor_mode 1
		.amdhsa_memory_ordered 1
		.amdhsa_forward_progress 0
		.amdhsa_shared_vgpr_count 0
		.amdhsa_exception_fp_ieee_invalid_op 0
		.amdhsa_exception_fp_denorm_src 0
		.amdhsa_exception_fp_ieee_div_zero 0
		.amdhsa_exception_fp_ieee_overflow 0
		.amdhsa_exception_fp_ieee_underflow 0
		.amdhsa_exception_fp_ieee_inexact 0
		.amdhsa_exception_int_div_zero 0
	.end_amdhsa_kernel
	.section	.text._ZN9rocsparseL22gebsrmvn_mxn_16_kernelILj64ELj16ELj2EdEEvi20rocsparse_direction_NS_24const_host_device_scalarIT2_EEPKiS6_PKS3_iiS8_S4_PS3_21rocsparse_index_base_b,"axG",@progbits,_ZN9rocsparseL22gebsrmvn_mxn_16_kernelILj64ELj16ELj2EdEEvi20rocsparse_direction_NS_24const_host_device_scalarIT2_EEPKiS6_PKS3_iiS8_S4_PS3_21rocsparse_index_base_b,comdat
.Lfunc_end61:
	.size	_ZN9rocsparseL22gebsrmvn_mxn_16_kernelILj64ELj16ELj2EdEEvi20rocsparse_direction_NS_24const_host_device_scalarIT2_EEPKiS6_PKS3_iiS8_S4_PS3_21rocsparse_index_base_b, .Lfunc_end61-_ZN9rocsparseL22gebsrmvn_mxn_16_kernelILj64ELj16ELj2EdEEvi20rocsparse_direction_NS_24const_host_device_scalarIT2_EEPKiS6_PKS3_iiS8_S4_PS3_21rocsparse_index_base_b
                                        ; -- End function
	.section	.AMDGPU.csdata,"",@progbits
; Kernel info:
; codeLenInByte = 1012
; NumSgprs: 18
; NumVgprs: 16
; ScratchSize: 0
; MemoryBound: 0
; FloatMode: 240
; IeeeMode: 1
; LDSByteSize: 512 bytes/workgroup (compile time only)
; SGPRBlocks: 2
; VGPRBlocks: 1
; NumSGPRsForWavesPerEU: 18
; NumVGPRsForWavesPerEU: 16
; Occupancy: 16
; WaveLimiterHint : 1
; COMPUTE_PGM_RSRC2:SCRATCH_EN: 0
; COMPUTE_PGM_RSRC2:USER_SGPR: 15
; COMPUTE_PGM_RSRC2:TRAP_HANDLER: 0
; COMPUTE_PGM_RSRC2:TGID_X_EN: 1
; COMPUTE_PGM_RSRC2:TGID_Y_EN: 0
; COMPUTE_PGM_RSRC2:TGID_Z_EN: 0
; COMPUTE_PGM_RSRC2:TIDIG_COMP_CNT: 0
	.section	.text._ZN9rocsparseL22gebsrmvn_mxn_16_kernelILj48ELj16ELj3EdEEvi20rocsparse_direction_NS_24const_host_device_scalarIT2_EEPKiS6_PKS3_iiS8_S4_PS3_21rocsparse_index_base_b,"axG",@progbits,_ZN9rocsparseL22gebsrmvn_mxn_16_kernelILj48ELj16ELj3EdEEvi20rocsparse_direction_NS_24const_host_device_scalarIT2_EEPKiS6_PKS3_iiS8_S4_PS3_21rocsparse_index_base_b,comdat
	.globl	_ZN9rocsparseL22gebsrmvn_mxn_16_kernelILj48ELj16ELj3EdEEvi20rocsparse_direction_NS_24const_host_device_scalarIT2_EEPKiS6_PKS3_iiS8_S4_PS3_21rocsparse_index_base_b ; -- Begin function _ZN9rocsparseL22gebsrmvn_mxn_16_kernelILj48ELj16ELj3EdEEvi20rocsparse_direction_NS_24const_host_device_scalarIT2_EEPKiS6_PKS3_iiS8_S4_PS3_21rocsparse_index_base_b
	.p2align	8
	.type	_ZN9rocsparseL22gebsrmvn_mxn_16_kernelILj48ELj16ELj3EdEEvi20rocsparse_direction_NS_24const_host_device_scalarIT2_EEPKiS6_PKS3_iiS8_S4_PS3_21rocsparse_index_base_b,@function
_ZN9rocsparseL22gebsrmvn_mxn_16_kernelILj48ELj16ELj3EdEEvi20rocsparse_direction_NS_24const_host_device_scalarIT2_EEPKiS6_PKS3_iiS8_S4_PS3_21rocsparse_index_base_b: ; @_ZN9rocsparseL22gebsrmvn_mxn_16_kernelILj48ELj16ELj3EdEEvi20rocsparse_direction_NS_24const_host_device_scalarIT2_EEPKiS6_PKS3_iiS8_S4_PS3_21rocsparse_index_base_b
; %bb.0:
	s_clause 0x2
	s_load_b64 s[10:11], s[0:1], 0x48
	s_load_b64 s[4:5], s[0:1], 0x8
	;; [unrolled: 1-line block ×3, first 2 shown]
	s_mov_b32 s8, s15
	s_waitcnt lgkmcnt(0)
	s_bitcmp1_b32 s11, 0
	v_dual_mov_b32 v3, s4 :: v_dual_mov_b32 v4, s5
	s_cselect_b32 s6, -1, 0
	s_delay_alu instid0(SALU_CYCLE_1)
	s_and_b32 vcc_lo, exec_lo, s6
	s_xor_b32 s6, s6, -1
	s_cbranch_vccnz .LBB62_2
; %bb.1:
	v_dual_mov_b32 v1, s4 :: v_dual_mov_b32 v2, s5
	flat_load_b64 v[3:4], v[1:2]
.LBB62_2:
	v_dual_mov_b32 v1, s2 :: v_dual_mov_b32 v2, s3
	s_and_not1_b32 vcc_lo, exec_lo, s6
	s_cbranch_vccnz .LBB62_4
; %bb.3:
	v_dual_mov_b32 v1, s2 :: v_dual_mov_b32 v2, s3
	flat_load_b64 v[1:2], v[1:2]
.LBB62_4:
	s_waitcnt vmcnt(0) lgkmcnt(0)
	v_cmp_neq_f64_e32 vcc_lo, 0, v[3:4]
	v_cmp_neq_f64_e64 s2, 1.0, v[1:2]
	s_delay_alu instid0(VALU_DEP_1) | instskip(NEXT) | instid1(SALU_CYCLE_1)
	s_or_b32 s2, vcc_lo, s2
	s_and_saveexec_b32 s3, s2
	s_cbranch_execz .LBB62_31
; %bb.5:
	s_clause 0x2
	s_load_b64 s[2:3], s[0:1], 0x40
	s_load_b32 s6, s[0:1], 0x4
	s_load_b64 s[4:5], s[0:1], 0x10
	v_mul_u32_u24_e32 v5, 0x5556, v0
	s_delay_alu instid0(VALU_DEP_1) | instskip(NEXT) | instid1(VALU_DEP_1)
	v_lshrrev_b32_e32 v5, 16, v5
	v_mul_lo_u16 v7, v5, 3
	v_mov_b32_e32 v5, 0
	v_mov_b32_e32 v6, 0
	s_delay_alu instid0(VALU_DEP_3)
	v_sub_nc_u16 v12, v0, v7
	s_waitcnt lgkmcnt(0)
	s_cmp_eq_u32 s6, 1
	s_cselect_b32 vcc_lo, -1, 0
	s_cmp_lg_u32 s6, 1
	s_cselect_b32 s11, -1, 0
	s_ashr_i32 s9, s8, 31
	s_delay_alu instid0(SALU_CYCLE_1) | instskip(NEXT) | instid1(SALU_CYCLE_1)
	s_lshl_b64 s[6:7], s[8:9], 2
	s_add_u32 s4, s4, s6
	s_addc_u32 s5, s5, s7
	s_load_b64 s[12:13], s[4:5], 0x0
	s_waitcnt lgkmcnt(0)
	s_cmp_ge_i32 s12, s13
	s_cbranch_scc1 .LBB62_10
; %bb.6:
	v_lshrrev_b32_e32 v5, 4, v0
	s_clause 0x1
	s_load_b128 s[4:7], s[0:1], 0x18
	s_load_b64 s[0:1], s[0:1], 0x30
	v_and_b32_e32 v9, 0xffff, v0
	v_mad_u64_u32 v[7:8], null, s12, 48, v[0:1]
	v_mul_lo_u16 v6, 0x56, v5
	v_and_b32_e32 v8, 0xffff, v12
	s_mul_i32 s9, s10, 48
	s_sub_i32 s12, s12, s10
	s_delay_alu instid0(VALU_DEP_2) | instskip(NEXT) | instid1(VALU_DEP_4)
	v_lshrrev_b16 v6, 8, v6
	v_subrev_nc_u32_e32 v7, s9, v7
	s_sub_i32 s9, s13, s10
	s_delay_alu instid0(VALU_DEP_2) | instskip(NEXT) | instid1(VALU_DEP_1)
	v_mul_lo_u16 v6, v6, 3
	v_sub_nc_u16 v5, v5, v6
	s_delay_alu instid0(VALU_DEP_1) | instskip(SKIP_2) | instid1(VALU_DEP_1)
	v_dual_mov_b32 v5, 0 :: v_dual_and_b32 v10, 0xff, v5
	v_mov_b32_e32 v6, 0
	v_mul_u32_u24_e32 v9, 0x556, v9
	v_lshrrev_b32_e32 v13, 16, v9
	s_delay_alu instid0(VALU_DEP_4)
	v_dual_cndmask_b32 v9, v8, v10 :: v_dual_mov_b32 v8, 0
	s_set_inst_prefetch_distance 0x1
	s_branch .LBB62_8
	.p2align	6
.LBB62_7:                               ;   in Loop: Header=BB62_8 Depth=1
	s_or_b32 exec_lo, exec_lo, s13
	v_add_nc_u32_e32 v7, 48, v7
	s_add_i32 s12, s12, 1
	s_delay_alu instid0(SALU_CYCLE_1)
	s_cmp_ge_i32 s12, s9
	s_cbranch_scc1 .LBB62_10
.LBB62_8:                               ; =>This Inner Loop Header: Depth=1
	s_delay_alu instid0(VALU_DEP_2) | instskip(SKIP_1) | instid1(VALU_DEP_1)
	v_add_nc_u32_e32 v10, s12, v13
	s_mov_b32 s13, exec_lo
	v_cmpx_gt_i32_e64 s9, v10
	s_cbranch_execz .LBB62_7
; %bb.9:                                ;   in Loop: Header=BB62_8 Depth=1
	v_ashrrev_i32_e32 v11, 31, v10
	s_delay_alu instid0(VALU_DEP_1) | instskip(SKIP_1) | instid1(VALU_DEP_1)
	v_lshlrev_b64 v[10:11], 2, v[10:11]
	s_waitcnt lgkmcnt(0)
	v_add_co_u32 v10, vcc_lo, s4, v10
	s_delay_alu instid0(VALU_DEP_2) | instskip(SKIP_3) | instid1(VALU_DEP_1)
	v_add_co_ci_u32_e32 v11, vcc_lo, s5, v11, vcc_lo
	global_load_b32 v10, v[10:11], off
	s_waitcnt vmcnt(0)
	v_subrev_nc_u32_e32 v14, s10, v10
	v_mad_u64_u32 v[10:11], null, v14, 3, v[9:10]
	v_lshlrev_b64 v[14:15], 3, v[7:8]
	s_delay_alu instid0(VALU_DEP_1) | instskip(NEXT) | instid1(VALU_DEP_3)
	v_add_co_u32 v14, vcc_lo, s6, v14
	v_ashrrev_i32_e32 v11, 31, v10
	s_delay_alu instid0(VALU_DEP_3) | instskip(NEXT) | instid1(VALU_DEP_2)
	v_add_co_ci_u32_e32 v15, vcc_lo, s7, v15, vcc_lo
	v_lshlrev_b64 v[10:11], 3, v[10:11]
	s_delay_alu instid0(VALU_DEP_1) | instskip(NEXT) | instid1(VALU_DEP_2)
	v_add_co_u32 v10, vcc_lo, s0, v10
	v_add_co_ci_u32_e32 v11, vcc_lo, s1, v11, vcc_lo
	global_load_b64 v[14:15], v[14:15], off
	global_load_b64 v[10:11], v[10:11], off
	s_waitcnt vmcnt(0)
	v_fma_f64 v[5:6], v[14:15], v[10:11], v[5:6]
	s_branch .LBB62_7
.LBB62_10:
	s_set_inst_prefetch_distance 0x2
	v_lshlrev_b32_e32 v9, 3, v0
	s_and_b32 vcc_lo, exec_lo, s11
	ds_store_b64 v9, v[5:6]
	s_waitcnt lgkmcnt(0)
	s_barrier
	buffer_gl0_inv
	s_cbranch_vccz .LBB62_18
; %bb.11:
	v_cmp_eq_u16_e32 vcc_lo, 0, v12
	s_and_saveexec_b32 s0, vcc_lo
	s_cbranch_execz .LBB62_13
; %bb.12:
	ds_load_2addr_b64 v[10:13], v9 offset1:2
	s_waitcnt lgkmcnt(0)
	v_add_f64 v[7:8], v[12:13], v[10:11]
	ds_store_b64 v9, v[7:8]
.LBB62_13:
	s_or_b32 exec_lo, exec_lo, s0
	s_waitcnt lgkmcnt(0)
	s_barrier
	buffer_gl0_inv
	s_and_saveexec_b32 s0, vcc_lo
	s_cbranch_execz .LBB62_15
; %bb.14:
	ds_load_2addr_b64 v[10:13], v9 offset1:1
	s_waitcnt lgkmcnt(0)
	v_add_f64 v[7:8], v[12:13], v[10:11]
	ds_store_b64 v9, v[7:8]
.LBB62_15:
	s_or_b32 exec_lo, exec_lo, s0
	v_dual_mov_b32 v8, v6 :: v_dual_mov_b32 v7, v5
	s_mov_b32 s0, exec_lo
	s_waitcnt lgkmcnt(0)
	s_barrier
	buffer_gl0_inv
	v_cmpx_gt_u32_e32 16, v0
	s_cbranch_execz .LBB62_17
; %bb.16:
	v_lshl_add_u32 v7, v0, 4, v9
	ds_load_b64 v[7:8], v7
.LBB62_17:
	s_or_b32 exec_lo, exec_lo, s0
	v_cmp_gt_u32_e64 s0, 16, v0
	s_branch .LBB62_26
.LBB62_18:
                                        ; implicit-def: $vgpr7_vgpr8
	v_cmp_gt_u32_e64 s0, 16, v0
	s_cbranch_execz .LBB62_26
; %bb.19:
	v_cmp_lt_u32_e32 vcc_lo, 15, v0
	s_delay_alu instid0(VALU_DEP_2)
	s_and_saveexec_b32 s1, s0
	s_cbranch_execz .LBB62_21
; %bb.20:
	ds_load_2addr_b64 v[10:13], v9 offset1:32
	s_waitcnt lgkmcnt(0)
	v_add_f64 v[7:8], v[12:13], v[10:11]
	ds_store_b64 v9, v[7:8]
.LBB62_21:
	s_or_b32 exec_lo, exec_lo, s1
	s_waitcnt lgkmcnt(0)
	s_barrier
	buffer_gl0_inv
	s_and_saveexec_b32 s0, vcc_lo
	s_delay_alu instid0(SALU_CYCLE_1)
	s_xor_b32 s0, exec_lo, s0
	s_cbranch_execz .LBB62_23
; %bb.22:
	buffer_gl0_inv
                                        ; implicit-def: $vgpr9
.LBB62_23:
	s_and_not1_saveexec_b32 s0, s0
	s_cbranch_execz .LBB62_25
; %bb.24:
	ds_load_2addr_b64 v[5:8], v9 offset1:16
	s_waitcnt lgkmcnt(0)
	v_add_f64 v[5:6], v[7:8], v[5:6]
	ds_store_b64 v9, v[5:6]
	s_waitcnt lgkmcnt(0)
	buffer_gl0_inv
	ds_load_b64 v[5:6], v9
.LBB62_25:
	s_or_b32 exec_lo, exec_lo, s0
	s_waitcnt lgkmcnt(0)
	v_dual_mov_b32 v8, v6 :: v_dual_mov_b32 v7, v5
.LBB62_26:
	v_cmp_gt_u32_e32 vcc_lo, 16, v0
	s_and_b32 exec_lo, exec_lo, vcc_lo
	s_cbranch_execz .LBB62_31
; %bb.27:
	s_waitcnt lgkmcnt(0)
	v_mul_f64 v[3:4], v[3:4], v[7:8]
	v_lshl_or_b32 v5, s8, 4, v0
	s_mov_b32 s0, exec_lo
	v_cmpx_eq_f64_e32 0, v[1:2]
	s_xor_b32 s0, exec_lo, s0
	s_cbranch_execz .LBB62_29
; %bb.28:
	v_mov_b32_e32 v6, 0
	s_delay_alu instid0(VALU_DEP_1) | instskip(NEXT) | instid1(VALU_DEP_1)
	v_lshlrev_b64 v[0:1], 3, v[5:6]
                                        ; implicit-def: $vgpr5
	v_add_co_u32 v0, vcc_lo, s2, v0
	s_delay_alu instid0(VALU_DEP_2)
	v_add_co_ci_u32_e32 v1, vcc_lo, s3, v1, vcc_lo
	global_store_b64 v[0:1], v[3:4], off
                                        ; implicit-def: $vgpr1_vgpr2
                                        ; implicit-def: $vgpr3_vgpr4
.LBB62_29:
	s_and_not1_saveexec_b32 s0, s0
	s_cbranch_execz .LBB62_31
; %bb.30:
	v_mov_b32_e32 v6, 0
	s_delay_alu instid0(VALU_DEP_1) | instskip(NEXT) | instid1(VALU_DEP_1)
	v_lshlrev_b64 v[5:6], 3, v[5:6]
	v_add_co_u32 v5, vcc_lo, s2, v5
	s_delay_alu instid0(VALU_DEP_2)
	v_add_co_ci_u32_e32 v6, vcc_lo, s3, v6, vcc_lo
	global_load_b64 v[7:8], v[5:6], off
	s_waitcnt vmcnt(0)
	v_fma_f64 v[0:1], v[1:2], v[7:8], v[3:4]
	global_store_b64 v[5:6], v[0:1], off
.LBB62_31:
	s_nop 0
	s_sendmsg sendmsg(MSG_DEALLOC_VGPRS)
	s_endpgm
	.section	.rodata,"a",@progbits
	.p2align	6, 0x0
	.amdhsa_kernel _ZN9rocsparseL22gebsrmvn_mxn_16_kernelILj48ELj16ELj3EdEEvi20rocsparse_direction_NS_24const_host_device_scalarIT2_EEPKiS6_PKS3_iiS8_S4_PS3_21rocsparse_index_base_b
		.amdhsa_group_segment_fixed_size 384
		.amdhsa_private_segment_fixed_size 0
		.amdhsa_kernarg_size 80
		.amdhsa_user_sgpr_count 15
		.amdhsa_user_sgpr_dispatch_ptr 0
		.amdhsa_user_sgpr_queue_ptr 0
		.amdhsa_user_sgpr_kernarg_segment_ptr 1
		.amdhsa_user_sgpr_dispatch_id 0
		.amdhsa_user_sgpr_private_segment_size 0
		.amdhsa_wavefront_size32 1
		.amdhsa_uses_dynamic_stack 0
		.amdhsa_enable_private_segment 0
		.amdhsa_system_sgpr_workgroup_id_x 1
		.amdhsa_system_sgpr_workgroup_id_y 0
		.amdhsa_system_sgpr_workgroup_id_z 0
		.amdhsa_system_sgpr_workgroup_info 0
		.amdhsa_system_vgpr_workitem_id 0
		.amdhsa_next_free_vgpr 16
		.amdhsa_next_free_sgpr 16
		.amdhsa_reserve_vcc 1
		.amdhsa_float_round_mode_32 0
		.amdhsa_float_round_mode_16_64 0
		.amdhsa_float_denorm_mode_32 3
		.amdhsa_float_denorm_mode_16_64 3
		.amdhsa_dx10_clamp 1
		.amdhsa_ieee_mode 1
		.amdhsa_fp16_overflow 0
		.amdhsa_workgroup_processor_mode 1
		.amdhsa_memory_ordered 1
		.amdhsa_forward_progress 0
		.amdhsa_shared_vgpr_count 0
		.amdhsa_exception_fp_ieee_invalid_op 0
		.amdhsa_exception_fp_denorm_src 0
		.amdhsa_exception_fp_ieee_div_zero 0
		.amdhsa_exception_fp_ieee_overflow 0
		.amdhsa_exception_fp_ieee_underflow 0
		.amdhsa_exception_fp_ieee_inexact 0
		.amdhsa_exception_int_div_zero 0
	.end_amdhsa_kernel
	.section	.text._ZN9rocsparseL22gebsrmvn_mxn_16_kernelILj48ELj16ELj3EdEEvi20rocsparse_direction_NS_24const_host_device_scalarIT2_EEPKiS6_PKS3_iiS8_S4_PS3_21rocsparse_index_base_b,"axG",@progbits,_ZN9rocsparseL22gebsrmvn_mxn_16_kernelILj48ELj16ELj3EdEEvi20rocsparse_direction_NS_24const_host_device_scalarIT2_EEPKiS6_PKS3_iiS8_S4_PS3_21rocsparse_index_base_b,comdat
.Lfunc_end62:
	.size	_ZN9rocsparseL22gebsrmvn_mxn_16_kernelILj48ELj16ELj3EdEEvi20rocsparse_direction_NS_24const_host_device_scalarIT2_EEPKiS6_PKS3_iiS8_S4_PS3_21rocsparse_index_base_b, .Lfunc_end62-_ZN9rocsparseL22gebsrmvn_mxn_16_kernelILj48ELj16ELj3EdEEvi20rocsparse_direction_NS_24const_host_device_scalarIT2_EEPKiS6_PKS3_iiS8_S4_PS3_21rocsparse_index_base_b
                                        ; -- End function
	.section	.AMDGPU.csdata,"",@progbits
; Kernel info:
; codeLenInByte = 1184
; NumSgprs: 18
; NumVgprs: 16
; ScratchSize: 0
; MemoryBound: 0
; FloatMode: 240
; IeeeMode: 1
; LDSByteSize: 384 bytes/workgroup (compile time only)
; SGPRBlocks: 2
; VGPRBlocks: 1
; NumSGPRsForWavesPerEU: 18
; NumVGPRsForWavesPerEU: 16
; Occupancy: 16
; WaveLimiterHint : 1
; COMPUTE_PGM_RSRC2:SCRATCH_EN: 0
; COMPUTE_PGM_RSRC2:USER_SGPR: 15
; COMPUTE_PGM_RSRC2:TRAP_HANDLER: 0
; COMPUTE_PGM_RSRC2:TGID_X_EN: 1
; COMPUTE_PGM_RSRC2:TGID_Y_EN: 0
; COMPUTE_PGM_RSRC2:TGID_Z_EN: 0
; COMPUTE_PGM_RSRC2:TIDIG_COMP_CNT: 0
	.section	.text._ZN9rocsparseL22gebsrmvn_mxn_16_kernelILj64ELj16ELj4EdEEvi20rocsparse_direction_NS_24const_host_device_scalarIT2_EEPKiS6_PKS3_iiS8_S4_PS3_21rocsparse_index_base_b,"axG",@progbits,_ZN9rocsparseL22gebsrmvn_mxn_16_kernelILj64ELj16ELj4EdEEvi20rocsparse_direction_NS_24const_host_device_scalarIT2_EEPKiS6_PKS3_iiS8_S4_PS3_21rocsparse_index_base_b,comdat
	.globl	_ZN9rocsparseL22gebsrmvn_mxn_16_kernelILj64ELj16ELj4EdEEvi20rocsparse_direction_NS_24const_host_device_scalarIT2_EEPKiS6_PKS3_iiS8_S4_PS3_21rocsparse_index_base_b ; -- Begin function _ZN9rocsparseL22gebsrmvn_mxn_16_kernelILj64ELj16ELj4EdEEvi20rocsparse_direction_NS_24const_host_device_scalarIT2_EEPKiS6_PKS3_iiS8_S4_PS3_21rocsparse_index_base_b
	.p2align	8
	.type	_ZN9rocsparseL22gebsrmvn_mxn_16_kernelILj64ELj16ELj4EdEEvi20rocsparse_direction_NS_24const_host_device_scalarIT2_EEPKiS6_PKS3_iiS8_S4_PS3_21rocsparse_index_base_b,@function
_ZN9rocsparseL22gebsrmvn_mxn_16_kernelILj64ELj16ELj4EdEEvi20rocsparse_direction_NS_24const_host_device_scalarIT2_EEPKiS6_PKS3_iiS8_S4_PS3_21rocsparse_index_base_b: ; @_ZN9rocsparseL22gebsrmvn_mxn_16_kernelILj64ELj16ELj4EdEEvi20rocsparse_direction_NS_24const_host_device_scalarIT2_EEPKiS6_PKS3_iiS8_S4_PS3_21rocsparse_index_base_b
; %bb.0:
	s_clause 0x2
	s_load_b64 s[10:11], s[0:1], 0x48
	s_load_b64 s[4:5], s[0:1], 0x8
	;; [unrolled: 1-line block ×3, first 2 shown]
	s_mov_b32 s8, s15
	s_waitcnt lgkmcnt(0)
	s_bitcmp1_b32 s11, 0
	v_dual_mov_b32 v3, s4 :: v_dual_mov_b32 v4, s5
	s_cselect_b32 s6, -1, 0
	s_delay_alu instid0(SALU_CYCLE_1)
	s_and_b32 vcc_lo, exec_lo, s6
	s_xor_b32 s6, s6, -1
	s_cbranch_vccnz .LBB63_2
; %bb.1:
	v_dual_mov_b32 v1, s4 :: v_dual_mov_b32 v2, s5
	flat_load_b64 v[3:4], v[1:2]
.LBB63_2:
	v_dual_mov_b32 v1, s2 :: v_dual_mov_b32 v2, s3
	s_and_not1_b32 vcc_lo, exec_lo, s6
	s_cbranch_vccnz .LBB63_4
; %bb.3:
	v_dual_mov_b32 v1, s2 :: v_dual_mov_b32 v2, s3
	flat_load_b64 v[1:2], v[1:2]
.LBB63_4:
	s_waitcnt vmcnt(0) lgkmcnt(0)
	v_cmp_neq_f64_e32 vcc_lo, 0, v[3:4]
	v_cmp_neq_f64_e64 s2, 1.0, v[1:2]
	s_delay_alu instid0(VALU_DEP_1) | instskip(NEXT) | instid1(SALU_CYCLE_1)
	s_or_b32 s2, vcc_lo, s2
	s_and_saveexec_b32 s3, s2
	s_cbranch_execz .LBB63_31
; %bb.5:
	s_clause 0x2
	s_load_b64 s[2:3], s[0:1], 0x40
	s_load_b32 s6, s[0:1], 0x4
	s_load_b64 s[4:5], s[0:1], 0x10
	v_dual_mov_b32 v5, 0 :: v_dual_and_b32 v10, 3, v0
	v_mov_b32_e32 v6, 0
	s_waitcnt lgkmcnt(0)
	s_cmp_eq_u32 s6, 1
	s_cselect_b32 vcc_lo, -1, 0
	s_cmp_lg_u32 s6, 1
	s_cselect_b32 s11, -1, 0
	s_ashr_i32 s9, s8, 31
	s_delay_alu instid0(SALU_CYCLE_1) | instskip(NEXT) | instid1(SALU_CYCLE_1)
	s_lshl_b64 s[6:7], s[8:9], 2
	s_add_u32 s4, s4, s6
	s_addc_u32 s5, s5, s7
	s_load_b64 s[12:13], s[4:5], 0x0
	s_waitcnt lgkmcnt(0)
	s_cmp_ge_i32 s12, s13
	s_cbranch_scc1 .LBB63_10
; %bb.6:
	s_clause 0x1
	s_load_b128 s[4:7], s[0:1], 0x18
	s_load_b64 s[0:1], s[0:1], 0x30
	v_lshrrev_b32_e32 v5, 4, v0
	v_lshl_or_b32 v6, s12, 6, v0
	s_lshl_b32 s9, s10, 6
	s_sub_i32 s12, s12, s10
	s_delay_alu instid0(VALU_DEP_2) | instskip(NEXT) | instid1(VALU_DEP_2)
	v_dual_mov_b32 v8, 0 :: v_dual_cndmask_b32 v9, v10, v5
	v_subrev_nc_u32_e32 v7, s9, v6
	v_mov_b32_e32 v5, 0
	v_mov_b32_e32 v6, 0
	s_sub_i32 s9, s13, s10
	s_set_inst_prefetch_distance 0x1
	s_branch .LBB63_8
	.p2align	6
.LBB63_7:                               ;   in Loop: Header=BB63_8 Depth=1
	s_or_b32 exec_lo, exec_lo, s13
	v_add_nc_u32_e32 v7, 64, v7
	s_add_i32 s12, s12, 1
	s_delay_alu instid0(SALU_CYCLE_1)
	s_cmp_ge_i32 s12, s9
	s_cbranch_scc1 .LBB63_10
.LBB63_8:                               ; =>This Inner Loop Header: Depth=1
	s_cmp_lt_i32 s12, s9
	s_cselect_b32 s14, -1, 0
	s_delay_alu instid0(SALU_CYCLE_1)
	s_and_saveexec_b32 s13, s14
	s_cbranch_execz .LBB63_7
; %bb.9:                                ;   in Loop: Header=BB63_8 Depth=1
	v_mov_b32_e32 v11, s12
	v_ashrrev_i32_e64 v12, 31, s12
	v_lshlrev_b64 v[13:14], 3, v[7:8]
	s_delay_alu instid0(VALU_DEP_2) | instskip(SKIP_1) | instid1(VALU_DEP_1)
	v_lshlrev_b64 v[11:12], 2, v[11:12]
	s_waitcnt lgkmcnt(0)
	v_add_co_u32 v11, vcc_lo, s4, v11
	s_delay_alu instid0(VALU_DEP_2) | instskip(NEXT) | instid1(VALU_DEP_4)
	v_add_co_ci_u32_e32 v12, vcc_lo, s5, v12, vcc_lo
	v_add_co_u32 v13, vcc_lo, s6, v13
	v_add_co_ci_u32_e32 v14, vcc_lo, s7, v14, vcc_lo
	global_load_b32 v11, v[11:12], off
	s_waitcnt vmcnt(0)
	v_subrev_nc_u32_e32 v11, s10, v11
	s_delay_alu instid0(VALU_DEP_1) | instskip(NEXT) | instid1(VALU_DEP_1)
	v_lshl_or_b32 v11, v11, 2, v9
	v_ashrrev_i32_e32 v12, 31, v11
	s_delay_alu instid0(VALU_DEP_1) | instskip(NEXT) | instid1(VALU_DEP_1)
	v_lshlrev_b64 v[11:12], 3, v[11:12]
	v_add_co_u32 v11, vcc_lo, s0, v11
	s_delay_alu instid0(VALU_DEP_2)
	v_add_co_ci_u32_e32 v12, vcc_lo, s1, v12, vcc_lo
	global_load_b64 v[13:14], v[13:14], off
	global_load_b64 v[11:12], v[11:12], off
	s_waitcnt vmcnt(0)
	v_fma_f64 v[5:6], v[13:14], v[11:12], v[5:6]
	s_branch .LBB63_7
.LBB63_10:
	s_set_inst_prefetch_distance 0x2
	v_lshlrev_b32_e32 v9, 3, v0
	s_and_b32 vcc_lo, exec_lo, s11
	ds_store_b64 v9, v[5:6]
	s_waitcnt lgkmcnt(0)
	s_barrier
	buffer_gl0_inv
	s_cbranch_vccz .LBB63_18
; %bb.11:
	s_mov_b32 s0, exec_lo
	v_cmpx_gt_u32_e32 2, v10
	s_cbranch_execz .LBB63_13
; %bb.12:
	ds_load_2addr_b64 v[11:14], v9 offset1:2
	s_waitcnt lgkmcnt(0)
	v_add_f64 v[7:8], v[13:14], v[11:12]
	ds_store_b64 v9, v[7:8]
.LBB63_13:
	s_or_b32 exec_lo, exec_lo, s0
	s_delay_alu instid0(SALU_CYCLE_1)
	s_mov_b32 s0, exec_lo
	s_waitcnt lgkmcnt(0)
	s_barrier
	buffer_gl0_inv
	v_cmpx_eq_u32_e32 0, v10
	s_cbranch_execz .LBB63_15
; %bb.14:
	ds_load_2addr_b64 v[10:13], v9 offset1:1
	s_waitcnt lgkmcnt(0)
	v_add_f64 v[7:8], v[12:13], v[10:11]
	ds_store_b64 v9, v[7:8]
.LBB63_15:
	s_or_b32 exec_lo, exec_lo, s0
	v_dual_mov_b32 v8, v6 :: v_dual_mov_b32 v7, v5
	s_mov_b32 s0, exec_lo
	s_waitcnt lgkmcnt(0)
	s_barrier
	buffer_gl0_inv
	v_cmpx_gt_u32_e32 16, v0
	s_cbranch_execz .LBB63_17
; %bb.16:
	v_mad_u32_u24 v7, v0, 24, v9
	ds_load_b64 v[7:8], v7
.LBB63_17:
	s_or_b32 exec_lo, exec_lo, s0
	s_branch .LBB63_26
.LBB63_18:
                                        ; implicit-def: $vgpr7_vgpr8
	s_cbranch_execz .LBB63_26
; %bb.19:
	s_mov_b32 s0, exec_lo
	v_cmpx_gt_u32_e32 32, v0
	s_cbranch_execz .LBB63_21
; %bb.20:
	ds_load_2addr_b64 v[10:13], v9 offset1:32
	s_waitcnt lgkmcnt(0)
	v_add_f64 v[7:8], v[12:13], v[10:11]
	ds_store_b64 v9, v[7:8]
.LBB63_21:
	s_or_b32 exec_lo, exec_lo, s0
	s_delay_alu instid0(SALU_CYCLE_1)
	s_mov_b32 s0, exec_lo
	s_waitcnt lgkmcnt(0)
	buffer_gl0_inv
	v_cmpx_lt_u32_e32 15, v0
	s_xor_b32 s0, exec_lo, s0
	s_cbranch_execz .LBB63_23
; %bb.22:
	buffer_gl0_inv
                                        ; implicit-def: $vgpr9
.LBB63_23:
	s_and_not1_saveexec_b32 s0, s0
	s_cbranch_execz .LBB63_25
; %bb.24:
	ds_load_2addr_b64 v[5:8], v9 offset1:16
	s_waitcnt lgkmcnt(0)
	v_add_f64 v[5:6], v[7:8], v[5:6]
	ds_store_b64 v9, v[5:6]
	s_waitcnt lgkmcnt(0)
	buffer_gl0_inv
	ds_load_b64 v[5:6], v9
.LBB63_25:
	s_or_b32 exec_lo, exec_lo, s0
	s_waitcnt lgkmcnt(0)
	v_dual_mov_b32 v8, v6 :: v_dual_mov_b32 v7, v5
.LBB63_26:
	v_cmp_gt_u32_e32 vcc_lo, 16, v0
	s_and_b32 exec_lo, exec_lo, vcc_lo
	s_cbranch_execz .LBB63_31
; %bb.27:
	s_waitcnt lgkmcnt(0)
	v_mul_f64 v[3:4], v[3:4], v[7:8]
	v_lshl_or_b32 v5, s8, 4, v0
	s_mov_b32 s0, exec_lo
	v_cmpx_eq_f64_e32 0, v[1:2]
	s_xor_b32 s0, exec_lo, s0
	s_cbranch_execz .LBB63_29
; %bb.28:
	v_mov_b32_e32 v6, 0
	s_delay_alu instid0(VALU_DEP_1) | instskip(NEXT) | instid1(VALU_DEP_1)
	v_lshlrev_b64 v[0:1], 3, v[5:6]
                                        ; implicit-def: $vgpr5
	v_add_co_u32 v0, vcc_lo, s2, v0
	s_delay_alu instid0(VALU_DEP_2)
	v_add_co_ci_u32_e32 v1, vcc_lo, s3, v1, vcc_lo
	global_store_b64 v[0:1], v[3:4], off
                                        ; implicit-def: $vgpr1_vgpr2
                                        ; implicit-def: $vgpr3_vgpr4
.LBB63_29:
	s_and_not1_saveexec_b32 s0, s0
	s_cbranch_execz .LBB63_31
; %bb.30:
	v_mov_b32_e32 v6, 0
	s_delay_alu instid0(VALU_DEP_1) | instskip(NEXT) | instid1(VALU_DEP_1)
	v_lshlrev_b64 v[5:6], 3, v[5:6]
	v_add_co_u32 v5, vcc_lo, s2, v5
	s_delay_alu instid0(VALU_DEP_2)
	v_add_co_ci_u32_e32 v6, vcc_lo, s3, v6, vcc_lo
	global_load_b64 v[7:8], v[5:6], off
	s_waitcnt vmcnt(0)
	v_fma_f64 v[0:1], v[1:2], v[7:8], v[3:4]
	global_store_b64 v[5:6], v[0:1], off
.LBB63_31:
	s_nop 0
	s_sendmsg sendmsg(MSG_DEALLOC_VGPRS)
	s_endpgm
	.section	.rodata,"a",@progbits
	.p2align	6, 0x0
	.amdhsa_kernel _ZN9rocsparseL22gebsrmvn_mxn_16_kernelILj64ELj16ELj4EdEEvi20rocsparse_direction_NS_24const_host_device_scalarIT2_EEPKiS6_PKS3_iiS8_S4_PS3_21rocsparse_index_base_b
		.amdhsa_group_segment_fixed_size 512
		.amdhsa_private_segment_fixed_size 0
		.amdhsa_kernarg_size 80
		.amdhsa_user_sgpr_count 15
		.amdhsa_user_sgpr_dispatch_ptr 0
		.amdhsa_user_sgpr_queue_ptr 0
		.amdhsa_user_sgpr_kernarg_segment_ptr 1
		.amdhsa_user_sgpr_dispatch_id 0
		.amdhsa_user_sgpr_private_segment_size 0
		.amdhsa_wavefront_size32 1
		.amdhsa_uses_dynamic_stack 0
		.amdhsa_enable_private_segment 0
		.amdhsa_system_sgpr_workgroup_id_x 1
		.amdhsa_system_sgpr_workgroup_id_y 0
		.amdhsa_system_sgpr_workgroup_id_z 0
		.amdhsa_system_sgpr_workgroup_info 0
		.amdhsa_system_vgpr_workitem_id 0
		.amdhsa_next_free_vgpr 15
		.amdhsa_next_free_sgpr 16
		.amdhsa_reserve_vcc 1
		.amdhsa_float_round_mode_32 0
		.amdhsa_float_round_mode_16_64 0
		.amdhsa_float_denorm_mode_32 3
		.amdhsa_float_denorm_mode_16_64 3
		.amdhsa_dx10_clamp 1
		.amdhsa_ieee_mode 1
		.amdhsa_fp16_overflow 0
		.amdhsa_workgroup_processor_mode 1
		.amdhsa_memory_ordered 1
		.amdhsa_forward_progress 0
		.amdhsa_shared_vgpr_count 0
		.amdhsa_exception_fp_ieee_invalid_op 0
		.amdhsa_exception_fp_denorm_src 0
		.amdhsa_exception_fp_ieee_div_zero 0
		.amdhsa_exception_fp_ieee_overflow 0
		.amdhsa_exception_fp_ieee_underflow 0
		.amdhsa_exception_fp_ieee_inexact 0
		.amdhsa_exception_int_div_zero 0
	.end_amdhsa_kernel
	.section	.text._ZN9rocsparseL22gebsrmvn_mxn_16_kernelILj64ELj16ELj4EdEEvi20rocsparse_direction_NS_24const_host_device_scalarIT2_EEPKiS6_PKS3_iiS8_S4_PS3_21rocsparse_index_base_b,"axG",@progbits,_ZN9rocsparseL22gebsrmvn_mxn_16_kernelILj64ELj16ELj4EdEEvi20rocsparse_direction_NS_24const_host_device_scalarIT2_EEPKiS6_PKS3_iiS8_S4_PS3_21rocsparse_index_base_b,comdat
.Lfunc_end63:
	.size	_ZN9rocsparseL22gebsrmvn_mxn_16_kernelILj64ELj16ELj4EdEEvi20rocsparse_direction_NS_24const_host_device_scalarIT2_EEPKiS6_PKS3_iiS8_S4_PS3_21rocsparse_index_base_b, .Lfunc_end63-_ZN9rocsparseL22gebsrmvn_mxn_16_kernelILj64ELj16ELj4EdEEvi20rocsparse_direction_NS_24const_host_device_scalarIT2_EEPKiS6_PKS3_iiS8_S4_PS3_21rocsparse_index_base_b
                                        ; -- End function
	.section	.AMDGPU.csdata,"",@progbits
; Kernel info:
; codeLenInByte = 1060
; NumSgprs: 18
; NumVgprs: 15
; ScratchSize: 0
; MemoryBound: 0
; FloatMode: 240
; IeeeMode: 1
; LDSByteSize: 512 bytes/workgroup (compile time only)
; SGPRBlocks: 2
; VGPRBlocks: 1
; NumSGPRsForWavesPerEU: 18
; NumVGPRsForWavesPerEU: 15
; Occupancy: 16
; WaveLimiterHint : 1
; COMPUTE_PGM_RSRC2:SCRATCH_EN: 0
; COMPUTE_PGM_RSRC2:USER_SGPR: 15
; COMPUTE_PGM_RSRC2:TRAP_HANDLER: 0
; COMPUTE_PGM_RSRC2:TGID_X_EN: 1
; COMPUTE_PGM_RSRC2:TGID_Y_EN: 0
; COMPUTE_PGM_RSRC2:TGID_Z_EN: 0
; COMPUTE_PGM_RSRC2:TIDIG_COMP_CNT: 0
	.section	.text._ZN9rocsparseL22gebsrmvn_mxn_16_kernelILj80ELj16ELj5EdEEvi20rocsparse_direction_NS_24const_host_device_scalarIT2_EEPKiS6_PKS3_iiS8_S4_PS3_21rocsparse_index_base_b,"axG",@progbits,_ZN9rocsparseL22gebsrmvn_mxn_16_kernelILj80ELj16ELj5EdEEvi20rocsparse_direction_NS_24const_host_device_scalarIT2_EEPKiS6_PKS3_iiS8_S4_PS3_21rocsparse_index_base_b,comdat
	.globl	_ZN9rocsparseL22gebsrmvn_mxn_16_kernelILj80ELj16ELj5EdEEvi20rocsparse_direction_NS_24const_host_device_scalarIT2_EEPKiS6_PKS3_iiS8_S4_PS3_21rocsparse_index_base_b ; -- Begin function _ZN9rocsparseL22gebsrmvn_mxn_16_kernelILj80ELj16ELj5EdEEvi20rocsparse_direction_NS_24const_host_device_scalarIT2_EEPKiS6_PKS3_iiS8_S4_PS3_21rocsparse_index_base_b
	.p2align	8
	.type	_ZN9rocsparseL22gebsrmvn_mxn_16_kernelILj80ELj16ELj5EdEEvi20rocsparse_direction_NS_24const_host_device_scalarIT2_EEPKiS6_PKS3_iiS8_S4_PS3_21rocsparse_index_base_b,@function
_ZN9rocsparseL22gebsrmvn_mxn_16_kernelILj80ELj16ELj5EdEEvi20rocsparse_direction_NS_24const_host_device_scalarIT2_EEPKiS6_PKS3_iiS8_S4_PS3_21rocsparse_index_base_b: ; @_ZN9rocsparseL22gebsrmvn_mxn_16_kernelILj80ELj16ELj5EdEEvi20rocsparse_direction_NS_24const_host_device_scalarIT2_EEPKiS6_PKS3_iiS8_S4_PS3_21rocsparse_index_base_b
; %bb.0:
	s_clause 0x2
	s_load_b64 s[10:11], s[0:1], 0x48
	s_load_b64 s[4:5], s[0:1], 0x8
	;; [unrolled: 1-line block ×3, first 2 shown]
	s_mov_b32 s8, s15
	s_waitcnt lgkmcnt(0)
	s_bitcmp1_b32 s11, 0
	v_dual_mov_b32 v3, s4 :: v_dual_mov_b32 v4, s5
	s_cselect_b32 s6, -1, 0
	s_delay_alu instid0(SALU_CYCLE_1)
	s_and_b32 vcc_lo, exec_lo, s6
	s_xor_b32 s6, s6, -1
	s_cbranch_vccnz .LBB64_2
; %bb.1:
	v_dual_mov_b32 v1, s4 :: v_dual_mov_b32 v2, s5
	flat_load_b64 v[3:4], v[1:2]
.LBB64_2:
	v_dual_mov_b32 v1, s2 :: v_dual_mov_b32 v2, s3
	s_and_not1_b32 vcc_lo, exec_lo, s6
	s_cbranch_vccnz .LBB64_4
; %bb.3:
	v_dual_mov_b32 v1, s2 :: v_dual_mov_b32 v2, s3
	flat_load_b64 v[1:2], v[1:2]
.LBB64_4:
	s_waitcnt vmcnt(0) lgkmcnt(0)
	v_cmp_neq_f64_e32 vcc_lo, 0, v[3:4]
	v_cmp_neq_f64_e64 s2, 1.0, v[1:2]
	s_delay_alu instid0(VALU_DEP_1) | instskip(NEXT) | instid1(SALU_CYCLE_1)
	s_or_b32 s2, vcc_lo, s2
	s_and_saveexec_b32 s3, s2
	s_cbranch_execz .LBB64_35
; %bb.5:
	s_clause 0x2
	s_load_b64 s[2:3], s[0:1], 0x40
	s_load_b32 s6, s[0:1], 0x4
	s_load_b64 s[4:5], s[0:1], 0x10
	v_mul_u32_u24_e32 v5, 0x3334, v0
	s_delay_alu instid0(VALU_DEP_1) | instskip(NEXT) | instid1(VALU_DEP_1)
	v_lshrrev_b32_e32 v5, 16, v5
	v_mul_lo_u16 v7, v5, 5
	v_mov_b32_e32 v5, 0
	v_mov_b32_e32 v6, 0
	s_delay_alu instid0(VALU_DEP_3)
	v_sub_nc_u16 v12, v0, v7
	s_waitcnt lgkmcnt(0)
	s_cmp_eq_u32 s6, 1
	s_cselect_b32 vcc_lo, -1, 0
	s_cmp_lg_u32 s6, 1
	s_cselect_b32 s11, -1, 0
	s_ashr_i32 s9, s8, 31
	s_delay_alu instid0(SALU_CYCLE_1) | instskip(NEXT) | instid1(SALU_CYCLE_1)
	s_lshl_b64 s[6:7], s[8:9], 2
	s_add_u32 s4, s4, s6
	s_addc_u32 s5, s5, s7
	s_load_b64 s[12:13], s[4:5], 0x0
	s_waitcnt lgkmcnt(0)
	s_cmp_ge_i32 s12, s13
	s_cbranch_scc1 .LBB64_10
; %bb.6:
	v_lshrrev_b32_e32 v5, 4, v0
	s_clause 0x1
	s_load_b128 s[4:7], s[0:1], 0x18
	s_load_b64 s[0:1], s[0:1], 0x30
	v_and_b32_e32 v9, 0xffff, v0
	v_mad_u64_u32 v[7:8], null, 0x50, s12, v[0:1]
	v_mul_lo_u16 v6, v5, 52
	v_and_b32_e32 v8, 0xffff, v12
	s_mul_i32 s9, s10, 0x50
	s_sub_i32 s12, s12, s10
	s_delay_alu instid0(VALU_DEP_2) | instskip(NEXT) | instid1(VALU_DEP_4)
	v_lshrrev_b16 v6, 8, v6
	v_subrev_nc_u32_e32 v7, s9, v7
	s_sub_i32 s9, s13, s10
	s_delay_alu instid0(VALU_DEP_2) | instskip(NEXT) | instid1(VALU_DEP_1)
	v_mul_lo_u16 v6, v6, 5
	v_sub_nc_u16 v5, v5, v6
	s_delay_alu instid0(VALU_DEP_1) | instskip(SKIP_2) | instid1(VALU_DEP_1)
	v_dual_mov_b32 v5, 0 :: v_dual_and_b32 v10, 0xff, v5
	v_mov_b32_e32 v6, 0
	v_mul_u32_u24_e32 v9, 0x334, v9
	v_lshrrev_b32_e32 v13, 16, v9
	s_delay_alu instid0(VALU_DEP_4)
	v_dual_cndmask_b32 v9, v8, v10 :: v_dual_mov_b32 v8, 0
	s_set_inst_prefetch_distance 0x1
	s_branch .LBB64_8
	.p2align	6
.LBB64_7:                               ;   in Loop: Header=BB64_8 Depth=1
	s_or_b32 exec_lo, exec_lo, s13
	v_add_nc_u32_e32 v7, 0x50, v7
	s_add_i32 s12, s12, 1
	s_delay_alu instid0(SALU_CYCLE_1)
	s_cmp_ge_i32 s12, s9
	s_cbranch_scc1 .LBB64_10
.LBB64_8:                               ; =>This Inner Loop Header: Depth=1
	s_delay_alu instid0(VALU_DEP_2) | instskip(SKIP_1) | instid1(VALU_DEP_1)
	v_add_nc_u32_e32 v10, s12, v13
	s_mov_b32 s13, exec_lo
	v_cmpx_gt_i32_e64 s9, v10
	s_cbranch_execz .LBB64_7
; %bb.9:                                ;   in Loop: Header=BB64_8 Depth=1
	v_ashrrev_i32_e32 v11, 31, v10
	s_delay_alu instid0(VALU_DEP_1) | instskip(SKIP_1) | instid1(VALU_DEP_1)
	v_lshlrev_b64 v[10:11], 2, v[10:11]
	s_waitcnt lgkmcnt(0)
	v_add_co_u32 v10, vcc_lo, s4, v10
	s_delay_alu instid0(VALU_DEP_2) | instskip(SKIP_3) | instid1(VALU_DEP_1)
	v_add_co_ci_u32_e32 v11, vcc_lo, s5, v11, vcc_lo
	global_load_b32 v10, v[10:11], off
	s_waitcnt vmcnt(0)
	v_subrev_nc_u32_e32 v14, s10, v10
	v_mad_u64_u32 v[10:11], null, v14, 5, v[9:10]
	v_lshlrev_b64 v[14:15], 3, v[7:8]
	s_delay_alu instid0(VALU_DEP_1) | instskip(NEXT) | instid1(VALU_DEP_3)
	v_add_co_u32 v14, vcc_lo, s6, v14
	v_ashrrev_i32_e32 v11, 31, v10
	s_delay_alu instid0(VALU_DEP_3) | instskip(NEXT) | instid1(VALU_DEP_2)
	v_add_co_ci_u32_e32 v15, vcc_lo, s7, v15, vcc_lo
	v_lshlrev_b64 v[10:11], 3, v[10:11]
	s_delay_alu instid0(VALU_DEP_1) | instskip(NEXT) | instid1(VALU_DEP_2)
	v_add_co_u32 v10, vcc_lo, s0, v10
	v_add_co_ci_u32_e32 v11, vcc_lo, s1, v11, vcc_lo
	global_load_b64 v[14:15], v[14:15], off
	global_load_b64 v[10:11], v[10:11], off
	s_waitcnt vmcnt(0)
	v_fma_f64 v[5:6], v[14:15], v[10:11], v[5:6]
	s_branch .LBB64_7
.LBB64_10:
	s_set_inst_prefetch_distance 0x2
	v_lshlrev_b32_e32 v9, 3, v0
	s_and_b32 vcc_lo, exec_lo, s11
	ds_store_b64 v9, v[5:6]
	s_waitcnt lgkmcnt(0)
	s_barrier
	buffer_gl0_inv
	s_cbranch_vccz .LBB64_20
; %bb.11:
	v_cmp_eq_u16_e32 vcc_lo, 0, v12
	s_and_saveexec_b32 s0, vcc_lo
	s_cbranch_execz .LBB64_13
; %bb.12:
	ds_load_2addr_b64 v[13:16], v9 offset1:4
	s_waitcnt lgkmcnt(0)
	v_add_f64 v[7:8], v[15:16], v[13:14]
	ds_store_b64 v9, v[7:8]
.LBB64_13:
	s_or_b32 exec_lo, exec_lo, s0
	s_delay_alu instid0(SALU_CYCLE_1)
	s_mov_b32 s1, exec_lo
	s_waitcnt lgkmcnt(0)
	s_barrier
	buffer_gl0_inv
	v_cmpx_gt_u16_e32 2, v12
	s_cbranch_execz .LBB64_15
; %bb.14:
	ds_load_2addr_b64 v[10:13], v9 offset1:2
	s_waitcnt lgkmcnt(0)
	v_add_f64 v[7:8], v[12:13], v[10:11]
	ds_store_b64 v9, v[7:8]
.LBB64_15:
	s_or_b32 exec_lo, exec_lo, s1
	s_waitcnt lgkmcnt(0)
	s_barrier
	buffer_gl0_inv
	s_and_saveexec_b32 s0, vcc_lo
	s_cbranch_execz .LBB64_17
; %bb.16:
	ds_load_2addr_b64 v[10:13], v9 offset1:1
	s_waitcnt lgkmcnt(0)
	v_add_f64 v[7:8], v[12:13], v[10:11]
	ds_store_b64 v9, v[7:8]
.LBB64_17:
	s_or_b32 exec_lo, exec_lo, s0
	v_dual_mov_b32 v8, v6 :: v_dual_mov_b32 v7, v5
	s_mov_b32 s0, exec_lo
	s_waitcnt lgkmcnt(0)
	s_barrier
	buffer_gl0_inv
	v_cmpx_gt_u32_e32 16, v0
	s_cbranch_execz .LBB64_19
; %bb.18:
	v_lshl_add_u32 v7, v0, 5, v9
	ds_load_b64 v[7:8], v7
.LBB64_19:
	s_or_b32 exec_lo, exec_lo, s0
	v_cmp_gt_u32_e64 s0, 16, v0
	s_branch .LBB64_30
.LBB64_20:
                                        ; implicit-def: $vgpr7_vgpr8
	v_cmp_gt_u32_e64 s0, 16, v0
	s_cbranch_execz .LBB64_30
; %bb.21:
	v_cmp_lt_u32_e32 vcc_lo, 15, v0
	s_delay_alu instid0(VALU_DEP_2)
	s_and_saveexec_b32 s1, s0
	s_cbranch_execz .LBB64_23
; %bb.22:
	ds_load_2addr_stride64_b64 v[10:13], v9 offset1:1
	s_waitcnt lgkmcnt(0)
	v_add_f64 v[7:8], v[12:13], v[10:11]
	ds_store_b64 v9, v[7:8]
.LBB64_23:
	s_or_b32 exec_lo, exec_lo, s1
	s_delay_alu instid0(SALU_CYCLE_1)
	s_mov_b32 s1, exec_lo
	s_waitcnt lgkmcnt(0)
	s_barrier
	buffer_gl0_inv
	v_cmpx_gt_u32_e32 32, v0
	s_cbranch_execz .LBB64_25
; %bb.24:
	ds_load_2addr_b64 v[10:13], v9 offset1:32
	s_waitcnt lgkmcnt(0)
	v_add_f64 v[7:8], v[12:13], v[10:11]
	ds_store_b64 v9, v[7:8]
.LBB64_25:
	s_or_b32 exec_lo, exec_lo, s1
	s_waitcnt lgkmcnt(0)
	buffer_gl0_inv
	s_and_saveexec_b32 s0, vcc_lo
	s_delay_alu instid0(SALU_CYCLE_1)
	s_xor_b32 s0, exec_lo, s0
	s_cbranch_execz .LBB64_27
; %bb.26:
	buffer_gl0_inv
                                        ; implicit-def: $vgpr9
.LBB64_27:
	s_and_not1_saveexec_b32 s0, s0
	s_cbranch_execz .LBB64_29
; %bb.28:
	ds_load_2addr_b64 v[5:8], v9 offset1:16
	s_waitcnt lgkmcnt(0)
	v_add_f64 v[5:6], v[7:8], v[5:6]
	ds_store_b64 v9, v[5:6]
	s_waitcnt lgkmcnt(0)
	buffer_gl0_inv
	ds_load_b64 v[5:6], v9
.LBB64_29:
	s_or_b32 exec_lo, exec_lo, s0
	s_waitcnt lgkmcnt(0)
	v_dual_mov_b32 v8, v6 :: v_dual_mov_b32 v7, v5
.LBB64_30:
	v_cmp_gt_u32_e32 vcc_lo, 16, v0
	s_and_b32 exec_lo, exec_lo, vcc_lo
	s_cbranch_execz .LBB64_35
; %bb.31:
	s_waitcnt lgkmcnt(0)
	v_mul_f64 v[3:4], v[3:4], v[7:8]
	v_lshl_or_b32 v5, s8, 4, v0
	s_mov_b32 s0, exec_lo
	v_cmpx_eq_f64_e32 0, v[1:2]
	s_xor_b32 s0, exec_lo, s0
	s_cbranch_execz .LBB64_33
; %bb.32:
	v_mov_b32_e32 v6, 0
	s_delay_alu instid0(VALU_DEP_1) | instskip(NEXT) | instid1(VALU_DEP_1)
	v_lshlrev_b64 v[0:1], 3, v[5:6]
                                        ; implicit-def: $vgpr5
	v_add_co_u32 v0, vcc_lo, s2, v0
	s_delay_alu instid0(VALU_DEP_2)
	v_add_co_ci_u32_e32 v1, vcc_lo, s3, v1, vcc_lo
	global_store_b64 v[0:1], v[3:4], off
                                        ; implicit-def: $vgpr1_vgpr2
                                        ; implicit-def: $vgpr3_vgpr4
.LBB64_33:
	s_and_not1_saveexec_b32 s0, s0
	s_cbranch_execz .LBB64_35
; %bb.34:
	v_mov_b32_e32 v6, 0
	s_delay_alu instid0(VALU_DEP_1) | instskip(NEXT) | instid1(VALU_DEP_1)
	v_lshlrev_b64 v[5:6], 3, v[5:6]
	v_add_co_u32 v5, vcc_lo, s2, v5
	s_delay_alu instid0(VALU_DEP_2)
	v_add_co_ci_u32_e32 v6, vcc_lo, s3, v6, vcc_lo
	global_load_b64 v[7:8], v[5:6], off
	s_waitcnt vmcnt(0)
	v_fma_f64 v[0:1], v[1:2], v[7:8], v[3:4]
	global_store_b64 v[5:6], v[0:1], off
.LBB64_35:
	s_nop 0
	s_sendmsg sendmsg(MSG_DEALLOC_VGPRS)
	s_endpgm
	.section	.rodata,"a",@progbits
	.p2align	6, 0x0
	.amdhsa_kernel _ZN9rocsparseL22gebsrmvn_mxn_16_kernelILj80ELj16ELj5EdEEvi20rocsparse_direction_NS_24const_host_device_scalarIT2_EEPKiS6_PKS3_iiS8_S4_PS3_21rocsparse_index_base_b
		.amdhsa_group_segment_fixed_size 640
		.amdhsa_private_segment_fixed_size 0
		.amdhsa_kernarg_size 80
		.amdhsa_user_sgpr_count 15
		.amdhsa_user_sgpr_dispatch_ptr 0
		.amdhsa_user_sgpr_queue_ptr 0
		.amdhsa_user_sgpr_kernarg_segment_ptr 1
		.amdhsa_user_sgpr_dispatch_id 0
		.amdhsa_user_sgpr_private_segment_size 0
		.amdhsa_wavefront_size32 1
		.amdhsa_uses_dynamic_stack 0
		.amdhsa_enable_private_segment 0
		.amdhsa_system_sgpr_workgroup_id_x 1
		.amdhsa_system_sgpr_workgroup_id_y 0
		.amdhsa_system_sgpr_workgroup_id_z 0
		.amdhsa_system_sgpr_workgroup_info 0
		.amdhsa_system_vgpr_workitem_id 0
		.amdhsa_next_free_vgpr 17
		.amdhsa_next_free_sgpr 16
		.amdhsa_reserve_vcc 1
		.amdhsa_float_round_mode_32 0
		.amdhsa_float_round_mode_16_64 0
		.amdhsa_float_denorm_mode_32 3
		.amdhsa_float_denorm_mode_16_64 3
		.amdhsa_dx10_clamp 1
		.amdhsa_ieee_mode 1
		.amdhsa_fp16_overflow 0
		.amdhsa_workgroup_processor_mode 1
		.amdhsa_memory_ordered 1
		.amdhsa_forward_progress 0
		.amdhsa_shared_vgpr_count 0
		.amdhsa_exception_fp_ieee_invalid_op 0
		.amdhsa_exception_fp_denorm_src 0
		.amdhsa_exception_fp_ieee_div_zero 0
		.amdhsa_exception_fp_ieee_overflow 0
		.amdhsa_exception_fp_ieee_underflow 0
		.amdhsa_exception_fp_ieee_inexact 0
		.amdhsa_exception_int_div_zero 0
	.end_amdhsa_kernel
	.section	.text._ZN9rocsparseL22gebsrmvn_mxn_16_kernelILj80ELj16ELj5EdEEvi20rocsparse_direction_NS_24const_host_device_scalarIT2_EEPKiS6_PKS3_iiS8_S4_PS3_21rocsparse_index_base_b,"axG",@progbits,_ZN9rocsparseL22gebsrmvn_mxn_16_kernelILj80ELj16ELj5EdEEvi20rocsparse_direction_NS_24const_host_device_scalarIT2_EEPKiS6_PKS3_iiS8_S4_PS3_21rocsparse_index_base_b,comdat
.Lfunc_end64:
	.size	_ZN9rocsparseL22gebsrmvn_mxn_16_kernelILj80ELj16ELj5EdEEvi20rocsparse_direction_NS_24const_host_device_scalarIT2_EEPKiS6_PKS3_iiS8_S4_PS3_21rocsparse_index_base_b, .Lfunc_end64-_ZN9rocsparseL22gebsrmvn_mxn_16_kernelILj80ELj16ELj5EdEEvi20rocsparse_direction_NS_24const_host_device_scalarIT2_EEPKiS6_PKS3_iiS8_S4_PS3_21rocsparse_index_base_b
                                        ; -- End function
	.section	.AMDGPU.csdata,"",@progbits
; Kernel info:
; codeLenInByte = 1316
; NumSgprs: 18
; NumVgprs: 17
; ScratchSize: 0
; MemoryBound: 0
; FloatMode: 240
; IeeeMode: 1
; LDSByteSize: 640 bytes/workgroup (compile time only)
; SGPRBlocks: 2
; VGPRBlocks: 2
; NumSGPRsForWavesPerEU: 18
; NumVGPRsForWavesPerEU: 17
; Occupancy: 16
; WaveLimiterHint : 1
; COMPUTE_PGM_RSRC2:SCRATCH_EN: 0
; COMPUTE_PGM_RSRC2:USER_SGPR: 15
; COMPUTE_PGM_RSRC2:TRAP_HANDLER: 0
; COMPUTE_PGM_RSRC2:TGID_X_EN: 1
; COMPUTE_PGM_RSRC2:TGID_Y_EN: 0
; COMPUTE_PGM_RSRC2:TGID_Z_EN: 0
; COMPUTE_PGM_RSRC2:TIDIG_COMP_CNT: 0
	.section	.text._ZN9rocsparseL22gebsrmvn_mxn_16_kernelILj96ELj16ELj6EdEEvi20rocsparse_direction_NS_24const_host_device_scalarIT2_EEPKiS6_PKS3_iiS8_S4_PS3_21rocsparse_index_base_b,"axG",@progbits,_ZN9rocsparseL22gebsrmvn_mxn_16_kernelILj96ELj16ELj6EdEEvi20rocsparse_direction_NS_24const_host_device_scalarIT2_EEPKiS6_PKS3_iiS8_S4_PS3_21rocsparse_index_base_b,comdat
	.globl	_ZN9rocsparseL22gebsrmvn_mxn_16_kernelILj96ELj16ELj6EdEEvi20rocsparse_direction_NS_24const_host_device_scalarIT2_EEPKiS6_PKS3_iiS8_S4_PS3_21rocsparse_index_base_b ; -- Begin function _ZN9rocsparseL22gebsrmvn_mxn_16_kernelILj96ELj16ELj6EdEEvi20rocsparse_direction_NS_24const_host_device_scalarIT2_EEPKiS6_PKS3_iiS8_S4_PS3_21rocsparse_index_base_b
	.p2align	8
	.type	_ZN9rocsparseL22gebsrmvn_mxn_16_kernelILj96ELj16ELj6EdEEvi20rocsparse_direction_NS_24const_host_device_scalarIT2_EEPKiS6_PKS3_iiS8_S4_PS3_21rocsparse_index_base_b,@function
_ZN9rocsparseL22gebsrmvn_mxn_16_kernelILj96ELj16ELj6EdEEvi20rocsparse_direction_NS_24const_host_device_scalarIT2_EEPKiS6_PKS3_iiS8_S4_PS3_21rocsparse_index_base_b: ; @_ZN9rocsparseL22gebsrmvn_mxn_16_kernelILj96ELj16ELj6EdEEvi20rocsparse_direction_NS_24const_host_device_scalarIT2_EEPKiS6_PKS3_iiS8_S4_PS3_21rocsparse_index_base_b
; %bb.0:
	s_clause 0x2
	s_load_b64 s[10:11], s[0:1], 0x48
	s_load_b64 s[4:5], s[0:1], 0x8
	;; [unrolled: 1-line block ×3, first 2 shown]
	s_mov_b32 s8, s15
	s_waitcnt lgkmcnt(0)
	s_bitcmp1_b32 s11, 0
	v_dual_mov_b32 v3, s4 :: v_dual_mov_b32 v4, s5
	s_cselect_b32 s6, -1, 0
	s_delay_alu instid0(SALU_CYCLE_1)
	s_and_b32 vcc_lo, exec_lo, s6
	s_xor_b32 s6, s6, -1
	s_cbranch_vccnz .LBB65_2
; %bb.1:
	v_dual_mov_b32 v1, s4 :: v_dual_mov_b32 v2, s5
	flat_load_b64 v[3:4], v[1:2]
.LBB65_2:
	v_dual_mov_b32 v1, s2 :: v_dual_mov_b32 v2, s3
	s_and_not1_b32 vcc_lo, exec_lo, s6
	s_cbranch_vccnz .LBB65_4
; %bb.3:
	v_dual_mov_b32 v1, s2 :: v_dual_mov_b32 v2, s3
	flat_load_b64 v[1:2], v[1:2]
.LBB65_4:
	s_waitcnt vmcnt(0) lgkmcnt(0)
	v_cmp_neq_f64_e32 vcc_lo, 0, v[3:4]
	v_cmp_neq_f64_e64 s2, 1.0, v[1:2]
	s_delay_alu instid0(VALU_DEP_1) | instskip(NEXT) | instid1(SALU_CYCLE_1)
	s_or_b32 s2, vcc_lo, s2
	s_and_saveexec_b32 s3, s2
	s_cbranch_execz .LBB65_35
; %bb.5:
	s_clause 0x2
	s_load_b64 s[2:3], s[0:1], 0x40
	s_load_b32 s6, s[0:1], 0x4
	s_load_b64 s[4:5], s[0:1], 0x10
	v_mul_u32_u24_e32 v5, 0x2aab, v0
	s_delay_alu instid0(VALU_DEP_1) | instskip(NEXT) | instid1(VALU_DEP_1)
	v_lshrrev_b32_e32 v5, 16, v5
	v_mul_lo_u16 v7, v5, 6
	v_mov_b32_e32 v5, 0
	v_mov_b32_e32 v6, 0
	s_delay_alu instid0(VALU_DEP_3)
	v_sub_nc_u16 v12, v0, v7
	s_waitcnt lgkmcnt(0)
	s_cmp_eq_u32 s6, 1
	s_cselect_b32 vcc_lo, -1, 0
	s_cmp_lg_u32 s6, 1
	s_cselect_b32 s11, -1, 0
	s_ashr_i32 s9, s8, 31
	s_delay_alu instid0(SALU_CYCLE_1) | instskip(NEXT) | instid1(SALU_CYCLE_1)
	s_lshl_b64 s[6:7], s[8:9], 2
	s_add_u32 s4, s4, s6
	s_addc_u32 s5, s5, s7
	s_load_b64 s[12:13], s[4:5], 0x0
	s_waitcnt lgkmcnt(0)
	s_cmp_ge_i32 s12, s13
	s_cbranch_scc1 .LBB65_10
; %bb.6:
	v_lshrrev_b32_e32 v5, 4, v0
	s_clause 0x1
	s_load_b128 s[4:7], s[0:1], 0x18
	s_load_b64 s[0:1], s[0:1], 0x30
	v_and_b32_e32 v9, 0xffff, v0
	v_mad_u64_u32 v[7:8], null, 0x60, s12, v[0:1]
	v_mul_lo_u16 v6, v5, 43
	v_and_b32_e32 v8, 0xffff, v12
	s_mul_i32 s9, s10, 0x60
	s_sub_i32 s12, s12, s10
	s_delay_alu instid0(VALU_DEP_2) | instskip(NEXT) | instid1(VALU_DEP_4)
	v_lshrrev_b16 v6, 8, v6
	v_subrev_nc_u32_e32 v7, s9, v7
	s_sub_i32 s9, s13, s10
	s_delay_alu instid0(VALU_DEP_2) | instskip(NEXT) | instid1(VALU_DEP_1)
	v_mul_lo_u16 v6, v6, 6
	v_sub_nc_u16 v5, v5, v6
	s_delay_alu instid0(VALU_DEP_1) | instskip(SKIP_2) | instid1(VALU_DEP_1)
	v_dual_mov_b32 v5, 0 :: v_dual_and_b32 v10, 0xff, v5
	v_mov_b32_e32 v6, 0
	v_mul_u32_u24_e32 v9, 0x2ab, v9
	v_lshrrev_b32_e32 v13, 16, v9
	s_delay_alu instid0(VALU_DEP_4)
	v_dual_cndmask_b32 v9, v8, v10 :: v_dual_mov_b32 v8, 0
	s_set_inst_prefetch_distance 0x1
	s_branch .LBB65_8
	.p2align	6
.LBB65_7:                               ;   in Loop: Header=BB65_8 Depth=1
	s_or_b32 exec_lo, exec_lo, s13
	v_add_nc_u32_e32 v7, 0x60, v7
	s_add_i32 s12, s12, 1
	s_delay_alu instid0(SALU_CYCLE_1)
	s_cmp_ge_i32 s12, s9
	s_cbranch_scc1 .LBB65_10
.LBB65_8:                               ; =>This Inner Loop Header: Depth=1
	s_delay_alu instid0(VALU_DEP_2) | instskip(SKIP_1) | instid1(VALU_DEP_1)
	v_add_nc_u32_e32 v10, s12, v13
	s_mov_b32 s13, exec_lo
	v_cmpx_gt_i32_e64 s9, v10
	s_cbranch_execz .LBB65_7
; %bb.9:                                ;   in Loop: Header=BB65_8 Depth=1
	v_ashrrev_i32_e32 v11, 31, v10
	s_delay_alu instid0(VALU_DEP_1) | instskip(SKIP_1) | instid1(VALU_DEP_1)
	v_lshlrev_b64 v[10:11], 2, v[10:11]
	s_waitcnt lgkmcnt(0)
	v_add_co_u32 v10, vcc_lo, s4, v10
	s_delay_alu instid0(VALU_DEP_2) | instskip(SKIP_3) | instid1(VALU_DEP_1)
	v_add_co_ci_u32_e32 v11, vcc_lo, s5, v11, vcc_lo
	global_load_b32 v10, v[10:11], off
	s_waitcnt vmcnt(0)
	v_subrev_nc_u32_e32 v14, s10, v10
	v_mad_u64_u32 v[10:11], null, v14, 6, v[9:10]
	v_lshlrev_b64 v[14:15], 3, v[7:8]
	s_delay_alu instid0(VALU_DEP_1) | instskip(NEXT) | instid1(VALU_DEP_3)
	v_add_co_u32 v14, vcc_lo, s6, v14
	v_ashrrev_i32_e32 v11, 31, v10
	s_delay_alu instid0(VALU_DEP_3) | instskip(NEXT) | instid1(VALU_DEP_2)
	v_add_co_ci_u32_e32 v15, vcc_lo, s7, v15, vcc_lo
	v_lshlrev_b64 v[10:11], 3, v[10:11]
	s_delay_alu instid0(VALU_DEP_1) | instskip(NEXT) | instid1(VALU_DEP_2)
	v_add_co_u32 v10, vcc_lo, s0, v10
	v_add_co_ci_u32_e32 v11, vcc_lo, s1, v11, vcc_lo
	global_load_b64 v[14:15], v[14:15], off
	global_load_b64 v[10:11], v[10:11], off
	s_waitcnt vmcnt(0)
	v_fma_f64 v[5:6], v[14:15], v[10:11], v[5:6]
	s_branch .LBB65_7
.LBB65_10:
	s_set_inst_prefetch_distance 0x2
	v_lshlrev_b32_e32 v9, 3, v0
	s_and_b32 vcc_lo, exec_lo, s11
	ds_store_b64 v9, v[5:6]
	s_waitcnt lgkmcnt(0)
	s_barrier
	buffer_gl0_inv
	s_cbranch_vccz .LBB65_20
; %bb.11:
	v_cmp_gt_u16_e32 vcc_lo, 2, v12
	s_and_saveexec_b32 s0, vcc_lo
	s_cbranch_execz .LBB65_13
; %bb.12:
	ds_load_2addr_b64 v[13:16], v9 offset1:4
	s_waitcnt lgkmcnt(0)
	v_add_f64 v[7:8], v[15:16], v[13:14]
	ds_store_b64 v9, v[7:8]
.LBB65_13:
	s_or_b32 exec_lo, exec_lo, s0
	s_waitcnt lgkmcnt(0)
	s_barrier
	buffer_gl0_inv
	s_and_saveexec_b32 s0, vcc_lo
	s_cbranch_execz .LBB65_15
; %bb.14:
	ds_load_2addr_b64 v[13:16], v9 offset1:2
	s_waitcnt lgkmcnt(0)
	v_add_f64 v[7:8], v[15:16], v[13:14]
	ds_store_b64 v9, v[7:8]
.LBB65_15:
	s_or_b32 exec_lo, exec_lo, s0
	s_delay_alu instid0(SALU_CYCLE_1)
	s_mov_b32 s0, exec_lo
	s_waitcnt lgkmcnt(0)
	s_barrier
	buffer_gl0_inv
	v_cmpx_eq_u16_e32 0, v12
	s_cbranch_execz .LBB65_17
; %bb.16:
	ds_load_2addr_b64 v[10:13], v9 offset1:1
	s_waitcnt lgkmcnt(0)
	v_add_f64 v[7:8], v[12:13], v[10:11]
	ds_store_b64 v9, v[7:8]
.LBB65_17:
	s_or_b32 exec_lo, exec_lo, s0
	v_dual_mov_b32 v8, v6 :: v_dual_mov_b32 v7, v5
	s_mov_b32 s0, exec_lo
	s_waitcnt lgkmcnt(0)
	s_barrier
	buffer_gl0_inv
	v_cmpx_gt_u32_e32 16, v0
	s_cbranch_execz .LBB65_19
; %bb.18:
	v_mad_u32_u24 v7, v0, 40, v9
	ds_load_b64 v[7:8], v7
.LBB65_19:
	s_or_b32 exec_lo, exec_lo, s0
	s_branch .LBB65_30
.LBB65_20:
                                        ; implicit-def: $vgpr7_vgpr8
	s_cbranch_execz .LBB65_30
; %bb.21:
	v_cmp_gt_u32_e32 vcc_lo, 32, v0
	s_and_saveexec_b32 s0, vcc_lo
	s_cbranch_execz .LBB65_23
; %bb.22:
	ds_load_2addr_stride64_b64 v[10:13], v9 offset1:1
	s_waitcnt lgkmcnt(0)
	v_add_f64 v[7:8], v[12:13], v[10:11]
	ds_store_b64 v9, v[7:8]
.LBB65_23:
	s_or_b32 exec_lo, exec_lo, s0
	s_waitcnt lgkmcnt(0)
	s_barrier
	buffer_gl0_inv
	s_and_saveexec_b32 s0, vcc_lo
	s_cbranch_execz .LBB65_25
; %bb.24:
	ds_load_2addr_b64 v[10:13], v9 offset1:32
	s_waitcnt lgkmcnt(0)
	v_add_f64 v[7:8], v[12:13], v[10:11]
	ds_store_b64 v9, v[7:8]
.LBB65_25:
	s_or_b32 exec_lo, exec_lo, s0
	s_delay_alu instid0(SALU_CYCLE_1)
	s_mov_b32 s0, exec_lo
	s_waitcnt lgkmcnt(0)
	buffer_gl0_inv
	v_cmpx_lt_u32_e32 15, v0
	s_xor_b32 s0, exec_lo, s0
	s_cbranch_execz .LBB65_27
; %bb.26:
	buffer_gl0_inv
                                        ; implicit-def: $vgpr9
.LBB65_27:
	s_and_not1_saveexec_b32 s0, s0
	s_cbranch_execz .LBB65_29
; %bb.28:
	ds_load_2addr_b64 v[5:8], v9 offset1:16
	s_waitcnt lgkmcnt(0)
	v_add_f64 v[5:6], v[7:8], v[5:6]
	ds_store_b64 v9, v[5:6]
	s_waitcnt lgkmcnt(0)
	buffer_gl0_inv
	ds_load_b64 v[5:6], v9
.LBB65_29:
	s_or_b32 exec_lo, exec_lo, s0
	s_waitcnt lgkmcnt(0)
	v_dual_mov_b32 v8, v6 :: v_dual_mov_b32 v7, v5
.LBB65_30:
	v_cmp_gt_u32_e32 vcc_lo, 16, v0
	s_and_b32 exec_lo, exec_lo, vcc_lo
	s_cbranch_execz .LBB65_35
; %bb.31:
	s_waitcnt lgkmcnt(0)
	v_mul_f64 v[3:4], v[3:4], v[7:8]
	v_lshl_or_b32 v5, s8, 4, v0
	s_mov_b32 s0, exec_lo
	v_cmpx_eq_f64_e32 0, v[1:2]
	s_xor_b32 s0, exec_lo, s0
	s_cbranch_execz .LBB65_33
; %bb.32:
	v_mov_b32_e32 v6, 0
	s_delay_alu instid0(VALU_DEP_1) | instskip(NEXT) | instid1(VALU_DEP_1)
	v_lshlrev_b64 v[0:1], 3, v[5:6]
                                        ; implicit-def: $vgpr5
	v_add_co_u32 v0, vcc_lo, s2, v0
	s_delay_alu instid0(VALU_DEP_2)
	v_add_co_ci_u32_e32 v1, vcc_lo, s3, v1, vcc_lo
	global_store_b64 v[0:1], v[3:4], off
                                        ; implicit-def: $vgpr1_vgpr2
                                        ; implicit-def: $vgpr3_vgpr4
.LBB65_33:
	s_and_not1_saveexec_b32 s0, s0
	s_cbranch_execz .LBB65_35
; %bb.34:
	v_mov_b32_e32 v6, 0
	s_delay_alu instid0(VALU_DEP_1) | instskip(NEXT) | instid1(VALU_DEP_1)
	v_lshlrev_b64 v[5:6], 3, v[5:6]
	v_add_co_u32 v5, vcc_lo, s2, v5
	s_delay_alu instid0(VALU_DEP_2)
	v_add_co_ci_u32_e32 v6, vcc_lo, s3, v6, vcc_lo
	global_load_b64 v[7:8], v[5:6], off
	s_waitcnt vmcnt(0)
	v_fma_f64 v[0:1], v[1:2], v[7:8], v[3:4]
	global_store_b64 v[5:6], v[0:1], off
.LBB65_35:
	s_nop 0
	s_sendmsg sendmsg(MSG_DEALLOC_VGPRS)
	s_endpgm
	.section	.rodata,"a",@progbits
	.p2align	6, 0x0
	.amdhsa_kernel _ZN9rocsparseL22gebsrmvn_mxn_16_kernelILj96ELj16ELj6EdEEvi20rocsparse_direction_NS_24const_host_device_scalarIT2_EEPKiS6_PKS3_iiS8_S4_PS3_21rocsparse_index_base_b
		.amdhsa_group_segment_fixed_size 768
		.amdhsa_private_segment_fixed_size 0
		.amdhsa_kernarg_size 80
		.amdhsa_user_sgpr_count 15
		.amdhsa_user_sgpr_dispatch_ptr 0
		.amdhsa_user_sgpr_queue_ptr 0
		.amdhsa_user_sgpr_kernarg_segment_ptr 1
		.amdhsa_user_sgpr_dispatch_id 0
		.amdhsa_user_sgpr_private_segment_size 0
		.amdhsa_wavefront_size32 1
		.amdhsa_uses_dynamic_stack 0
		.amdhsa_enable_private_segment 0
		.amdhsa_system_sgpr_workgroup_id_x 1
		.amdhsa_system_sgpr_workgroup_id_y 0
		.amdhsa_system_sgpr_workgroup_id_z 0
		.amdhsa_system_sgpr_workgroup_info 0
		.amdhsa_system_vgpr_workitem_id 0
		.amdhsa_next_free_vgpr 17
		.amdhsa_next_free_sgpr 16
		.amdhsa_reserve_vcc 1
		.amdhsa_float_round_mode_32 0
		.amdhsa_float_round_mode_16_64 0
		.amdhsa_float_denorm_mode_32 3
		.amdhsa_float_denorm_mode_16_64 3
		.amdhsa_dx10_clamp 1
		.amdhsa_ieee_mode 1
		.amdhsa_fp16_overflow 0
		.amdhsa_workgroup_processor_mode 1
		.amdhsa_memory_ordered 1
		.amdhsa_forward_progress 0
		.amdhsa_shared_vgpr_count 0
		.amdhsa_exception_fp_ieee_invalid_op 0
		.amdhsa_exception_fp_denorm_src 0
		.amdhsa_exception_fp_ieee_div_zero 0
		.amdhsa_exception_fp_ieee_overflow 0
		.amdhsa_exception_fp_ieee_underflow 0
		.amdhsa_exception_fp_ieee_inexact 0
		.amdhsa_exception_int_div_zero 0
	.end_amdhsa_kernel
	.section	.text._ZN9rocsparseL22gebsrmvn_mxn_16_kernelILj96ELj16ELj6EdEEvi20rocsparse_direction_NS_24const_host_device_scalarIT2_EEPKiS6_PKS3_iiS8_S4_PS3_21rocsparse_index_base_b,"axG",@progbits,_ZN9rocsparseL22gebsrmvn_mxn_16_kernelILj96ELj16ELj6EdEEvi20rocsparse_direction_NS_24const_host_device_scalarIT2_EEPKiS6_PKS3_iiS8_S4_PS3_21rocsparse_index_base_b,comdat
.Lfunc_end65:
	.size	_ZN9rocsparseL22gebsrmvn_mxn_16_kernelILj96ELj16ELj6EdEEvi20rocsparse_direction_NS_24const_host_device_scalarIT2_EEPKiS6_PKS3_iiS8_S4_PS3_21rocsparse_index_base_b, .Lfunc_end65-_ZN9rocsparseL22gebsrmvn_mxn_16_kernelILj96ELj16ELj6EdEEvi20rocsparse_direction_NS_24const_host_device_scalarIT2_EEPKiS6_PKS3_iiS8_S4_PS3_21rocsparse_index_base_b
                                        ; -- End function
	.section	.AMDGPU.csdata,"",@progbits
; Kernel info:
; codeLenInByte = 1292
; NumSgprs: 18
; NumVgprs: 17
; ScratchSize: 0
; MemoryBound: 0
; FloatMode: 240
; IeeeMode: 1
; LDSByteSize: 768 bytes/workgroup (compile time only)
; SGPRBlocks: 2
; VGPRBlocks: 2
; NumSGPRsForWavesPerEU: 18
; NumVGPRsForWavesPerEU: 17
; Occupancy: 16
; WaveLimiterHint : 1
; COMPUTE_PGM_RSRC2:SCRATCH_EN: 0
; COMPUTE_PGM_RSRC2:USER_SGPR: 15
; COMPUTE_PGM_RSRC2:TRAP_HANDLER: 0
; COMPUTE_PGM_RSRC2:TGID_X_EN: 1
; COMPUTE_PGM_RSRC2:TGID_Y_EN: 0
; COMPUTE_PGM_RSRC2:TGID_Z_EN: 0
; COMPUTE_PGM_RSRC2:TIDIG_COMP_CNT: 0
	.section	.text._ZN9rocsparseL22gebsrmvn_mxn_16_kernelILj112ELj16ELj7EdEEvi20rocsparse_direction_NS_24const_host_device_scalarIT2_EEPKiS6_PKS3_iiS8_S4_PS3_21rocsparse_index_base_b,"axG",@progbits,_ZN9rocsparseL22gebsrmvn_mxn_16_kernelILj112ELj16ELj7EdEEvi20rocsparse_direction_NS_24const_host_device_scalarIT2_EEPKiS6_PKS3_iiS8_S4_PS3_21rocsparse_index_base_b,comdat
	.globl	_ZN9rocsparseL22gebsrmvn_mxn_16_kernelILj112ELj16ELj7EdEEvi20rocsparse_direction_NS_24const_host_device_scalarIT2_EEPKiS6_PKS3_iiS8_S4_PS3_21rocsparse_index_base_b ; -- Begin function _ZN9rocsparseL22gebsrmvn_mxn_16_kernelILj112ELj16ELj7EdEEvi20rocsparse_direction_NS_24const_host_device_scalarIT2_EEPKiS6_PKS3_iiS8_S4_PS3_21rocsparse_index_base_b
	.p2align	8
	.type	_ZN9rocsparseL22gebsrmvn_mxn_16_kernelILj112ELj16ELj7EdEEvi20rocsparse_direction_NS_24const_host_device_scalarIT2_EEPKiS6_PKS3_iiS8_S4_PS3_21rocsparse_index_base_b,@function
_ZN9rocsparseL22gebsrmvn_mxn_16_kernelILj112ELj16ELj7EdEEvi20rocsparse_direction_NS_24const_host_device_scalarIT2_EEPKiS6_PKS3_iiS8_S4_PS3_21rocsparse_index_base_b: ; @_ZN9rocsparseL22gebsrmvn_mxn_16_kernelILj112ELj16ELj7EdEEvi20rocsparse_direction_NS_24const_host_device_scalarIT2_EEPKiS6_PKS3_iiS8_S4_PS3_21rocsparse_index_base_b
; %bb.0:
	s_clause 0x2
	s_load_b64 s[10:11], s[0:1], 0x48
	s_load_b64 s[4:5], s[0:1], 0x8
	s_load_b64 s[2:3], s[0:1], 0x38
	s_mov_b32 s8, s15
	s_waitcnt lgkmcnt(0)
	s_bitcmp1_b32 s11, 0
	v_dual_mov_b32 v3, s4 :: v_dual_mov_b32 v4, s5
	s_cselect_b32 s6, -1, 0
	s_delay_alu instid0(SALU_CYCLE_1)
	s_and_b32 vcc_lo, exec_lo, s6
	s_xor_b32 s6, s6, -1
	s_cbranch_vccnz .LBB66_2
; %bb.1:
	v_dual_mov_b32 v1, s4 :: v_dual_mov_b32 v2, s5
	flat_load_b64 v[3:4], v[1:2]
.LBB66_2:
	v_dual_mov_b32 v1, s2 :: v_dual_mov_b32 v2, s3
	s_and_not1_b32 vcc_lo, exec_lo, s6
	s_cbranch_vccnz .LBB66_4
; %bb.3:
	v_dual_mov_b32 v1, s2 :: v_dual_mov_b32 v2, s3
	flat_load_b64 v[1:2], v[1:2]
.LBB66_4:
	s_waitcnt vmcnt(0) lgkmcnt(0)
	v_cmp_neq_f64_e32 vcc_lo, 0, v[3:4]
	v_cmp_neq_f64_e64 s2, 1.0, v[1:2]
	s_delay_alu instid0(VALU_DEP_1) | instskip(NEXT) | instid1(SALU_CYCLE_1)
	s_or_b32 s2, vcc_lo, s2
	s_and_saveexec_b32 s3, s2
	s_cbranch_execz .LBB66_35
; %bb.5:
	s_clause 0x2
	s_load_b64 s[2:3], s[0:1], 0x40
	s_load_b32 s6, s[0:1], 0x4
	s_load_b64 s[4:5], s[0:1], 0x10
	v_mul_u32_u24_e32 v5, 0x2493, v0
	s_delay_alu instid0(VALU_DEP_1) | instskip(NEXT) | instid1(VALU_DEP_1)
	v_lshrrev_b32_e32 v5, 16, v5
	v_mul_lo_u16 v7, v5, 7
	v_mov_b32_e32 v5, 0
	v_mov_b32_e32 v6, 0
	s_delay_alu instid0(VALU_DEP_3)
	v_sub_nc_u16 v12, v0, v7
	s_waitcnt lgkmcnt(0)
	s_cmp_eq_u32 s6, 1
	s_cselect_b32 vcc_lo, -1, 0
	s_cmp_lg_u32 s6, 1
	s_cselect_b32 s11, -1, 0
	s_ashr_i32 s9, s8, 31
	s_delay_alu instid0(SALU_CYCLE_1) | instskip(NEXT) | instid1(SALU_CYCLE_1)
	s_lshl_b64 s[6:7], s[8:9], 2
	s_add_u32 s4, s4, s6
	s_addc_u32 s5, s5, s7
	s_load_b64 s[12:13], s[4:5], 0x0
	s_waitcnt lgkmcnt(0)
	s_cmp_ge_i32 s12, s13
	s_cbranch_scc1 .LBB66_10
; %bb.6:
	v_lshrrev_b32_e32 v5, 4, v0
	s_clause 0x1
	s_load_b128 s[4:7], s[0:1], 0x18
	s_load_b64 s[0:1], s[0:1], 0x30
	v_and_b32_e32 v9, 0xffff, v0
	v_mad_u64_u32 v[7:8], null, 0x70, s12, v[0:1]
	v_mul_lo_u16 v6, v5, 37
	v_and_b32_e32 v8, 0xffff, v12
	s_mul_i32 s9, s10, 0x70
	s_sub_i32 s12, s12, s10
	s_delay_alu instid0(VALU_DEP_2) | instskip(NEXT) | instid1(VALU_DEP_4)
	v_lshrrev_b16 v6, 8, v6
	v_subrev_nc_u32_e32 v7, s9, v7
	s_sub_i32 s9, s13, s10
	s_delay_alu instid0(VALU_DEP_2) | instskip(NEXT) | instid1(VALU_DEP_1)
	v_mul_lo_u16 v6, v6, 7
	v_sub_nc_u16 v5, v5, v6
	s_delay_alu instid0(VALU_DEP_1) | instskip(SKIP_2) | instid1(VALU_DEP_1)
	v_dual_mov_b32 v5, 0 :: v_dual_and_b32 v10, 0xff, v5
	v_mov_b32_e32 v6, 0
	v_mul_u32_u24_e32 v9, 0x24a, v9
	v_lshrrev_b32_e32 v13, 16, v9
	s_delay_alu instid0(VALU_DEP_4)
	v_dual_cndmask_b32 v9, v8, v10 :: v_dual_mov_b32 v8, 0
	s_set_inst_prefetch_distance 0x1
	s_branch .LBB66_8
	.p2align	6
.LBB66_7:                               ;   in Loop: Header=BB66_8 Depth=1
	s_or_b32 exec_lo, exec_lo, s13
	v_add_nc_u32_e32 v7, 0x70, v7
	s_add_i32 s12, s12, 1
	s_delay_alu instid0(SALU_CYCLE_1)
	s_cmp_ge_i32 s12, s9
	s_cbranch_scc1 .LBB66_10
.LBB66_8:                               ; =>This Inner Loop Header: Depth=1
	s_delay_alu instid0(VALU_DEP_2) | instskip(SKIP_1) | instid1(VALU_DEP_1)
	v_add_nc_u32_e32 v10, s12, v13
	s_mov_b32 s13, exec_lo
	v_cmpx_gt_i32_e64 s9, v10
	s_cbranch_execz .LBB66_7
; %bb.9:                                ;   in Loop: Header=BB66_8 Depth=1
	v_ashrrev_i32_e32 v11, 31, v10
	s_delay_alu instid0(VALU_DEP_1) | instskip(SKIP_1) | instid1(VALU_DEP_1)
	v_lshlrev_b64 v[10:11], 2, v[10:11]
	s_waitcnt lgkmcnt(0)
	v_add_co_u32 v10, vcc_lo, s4, v10
	s_delay_alu instid0(VALU_DEP_2) | instskip(SKIP_3) | instid1(VALU_DEP_1)
	v_add_co_ci_u32_e32 v11, vcc_lo, s5, v11, vcc_lo
	global_load_b32 v10, v[10:11], off
	s_waitcnt vmcnt(0)
	v_subrev_nc_u32_e32 v14, s10, v10
	v_mad_u64_u32 v[10:11], null, v14, 7, v[9:10]
	v_lshlrev_b64 v[14:15], 3, v[7:8]
	s_delay_alu instid0(VALU_DEP_1) | instskip(NEXT) | instid1(VALU_DEP_3)
	v_add_co_u32 v14, vcc_lo, s6, v14
	v_ashrrev_i32_e32 v11, 31, v10
	s_delay_alu instid0(VALU_DEP_3) | instskip(NEXT) | instid1(VALU_DEP_2)
	v_add_co_ci_u32_e32 v15, vcc_lo, s7, v15, vcc_lo
	v_lshlrev_b64 v[10:11], 3, v[10:11]
	s_delay_alu instid0(VALU_DEP_1) | instskip(NEXT) | instid1(VALU_DEP_2)
	v_add_co_u32 v10, vcc_lo, s0, v10
	v_add_co_ci_u32_e32 v11, vcc_lo, s1, v11, vcc_lo
	global_load_b64 v[14:15], v[14:15], off
	global_load_b64 v[10:11], v[10:11], off
	s_waitcnt vmcnt(0)
	v_fma_f64 v[5:6], v[14:15], v[10:11], v[5:6]
	s_branch .LBB66_7
.LBB66_10:
	s_set_inst_prefetch_distance 0x2
	v_lshlrev_b32_e32 v9, 3, v0
	s_and_b32 vcc_lo, exec_lo, s11
	ds_store_b64 v9, v[5:6]
	s_waitcnt lgkmcnt(0)
	s_barrier
	buffer_gl0_inv
	s_cbranch_vccz .LBB66_20
; %bb.11:
	s_mov_b32 s0, exec_lo
	v_cmpx_gt_u16_e32 3, v12
	s_cbranch_execz .LBB66_13
; %bb.12:
	ds_load_2addr_b64 v[13:16], v9 offset1:4
	s_waitcnt lgkmcnt(0)
	v_add_f64 v[7:8], v[15:16], v[13:14]
	ds_store_b64 v9, v[7:8]
.LBB66_13:
	s_or_b32 exec_lo, exec_lo, s0
	s_delay_alu instid0(SALU_CYCLE_1)
	s_mov_b32 s0, exec_lo
	s_waitcnt lgkmcnt(0)
	s_barrier
	buffer_gl0_inv
	v_cmpx_gt_u16_e32 2, v12
	s_cbranch_execz .LBB66_15
; %bb.14:
	ds_load_2addr_b64 v[13:16], v9 offset1:2
	s_waitcnt lgkmcnt(0)
	v_add_f64 v[7:8], v[15:16], v[13:14]
	ds_store_b64 v9, v[7:8]
.LBB66_15:
	s_or_b32 exec_lo, exec_lo, s0
	s_delay_alu instid0(SALU_CYCLE_1)
	s_mov_b32 s0, exec_lo
	s_waitcnt lgkmcnt(0)
	s_barrier
	buffer_gl0_inv
	v_cmpx_eq_u16_e32 0, v12
	s_cbranch_execz .LBB66_17
; %bb.16:
	ds_load_2addr_b64 v[10:13], v9 offset1:1
	s_waitcnt lgkmcnt(0)
	v_add_f64 v[7:8], v[12:13], v[10:11]
	ds_store_b64 v9, v[7:8]
.LBB66_17:
	s_or_b32 exec_lo, exec_lo, s0
	v_dual_mov_b32 v8, v6 :: v_dual_mov_b32 v7, v5
	s_mov_b32 s0, exec_lo
	s_waitcnt lgkmcnt(0)
	s_barrier
	buffer_gl0_inv
	v_cmpx_gt_u32_e32 16, v0
	s_cbranch_execz .LBB66_19
; %bb.18:
	v_mad_u32_u24 v7, v0, 48, v9
	ds_load_b64 v[7:8], v7
.LBB66_19:
	s_or_b32 exec_lo, exec_lo, s0
	s_branch .LBB66_30
.LBB66_20:
                                        ; implicit-def: $vgpr7_vgpr8
	s_cbranch_execz .LBB66_30
; %bb.21:
	s_mov_b32 s0, exec_lo
	v_cmpx_gt_u32_e32 48, v0
	s_cbranch_execz .LBB66_23
; %bb.22:
	ds_load_2addr_stride64_b64 v[10:13], v9 offset1:1
	s_waitcnt lgkmcnt(0)
	v_add_f64 v[7:8], v[12:13], v[10:11]
	ds_store_b64 v9, v[7:8]
.LBB66_23:
	s_or_b32 exec_lo, exec_lo, s0
	s_delay_alu instid0(SALU_CYCLE_1)
	s_mov_b32 s0, exec_lo
	s_waitcnt lgkmcnt(0)
	s_barrier
	buffer_gl0_inv
	v_cmpx_gt_u32_e32 32, v0
	s_cbranch_execz .LBB66_25
; %bb.24:
	ds_load_2addr_b64 v[10:13], v9 offset1:32
	s_waitcnt lgkmcnt(0)
	v_add_f64 v[7:8], v[12:13], v[10:11]
	ds_store_b64 v9, v[7:8]
.LBB66_25:
	s_or_b32 exec_lo, exec_lo, s0
	s_delay_alu instid0(SALU_CYCLE_1)
	s_mov_b32 s0, exec_lo
	s_waitcnt lgkmcnt(0)
	buffer_gl0_inv
	v_cmpx_lt_u32_e32 15, v0
	s_xor_b32 s0, exec_lo, s0
	s_cbranch_execz .LBB66_27
; %bb.26:
	buffer_gl0_inv
                                        ; implicit-def: $vgpr9
.LBB66_27:
	s_and_not1_saveexec_b32 s0, s0
	s_cbranch_execz .LBB66_29
; %bb.28:
	ds_load_2addr_b64 v[5:8], v9 offset1:16
	s_waitcnt lgkmcnt(0)
	v_add_f64 v[5:6], v[7:8], v[5:6]
	ds_store_b64 v9, v[5:6]
	s_waitcnt lgkmcnt(0)
	buffer_gl0_inv
	ds_load_b64 v[5:6], v9
.LBB66_29:
	s_or_b32 exec_lo, exec_lo, s0
	s_waitcnt lgkmcnt(0)
	v_dual_mov_b32 v8, v6 :: v_dual_mov_b32 v7, v5
.LBB66_30:
	v_cmp_gt_u32_e32 vcc_lo, 16, v0
	s_and_b32 exec_lo, exec_lo, vcc_lo
	s_cbranch_execz .LBB66_35
; %bb.31:
	s_waitcnt lgkmcnt(0)
	v_mul_f64 v[3:4], v[3:4], v[7:8]
	v_lshl_or_b32 v5, s8, 4, v0
	s_mov_b32 s0, exec_lo
	v_cmpx_eq_f64_e32 0, v[1:2]
	s_xor_b32 s0, exec_lo, s0
	s_cbranch_execz .LBB66_33
; %bb.32:
	v_mov_b32_e32 v6, 0
	s_delay_alu instid0(VALU_DEP_1) | instskip(NEXT) | instid1(VALU_DEP_1)
	v_lshlrev_b64 v[0:1], 3, v[5:6]
                                        ; implicit-def: $vgpr5
	v_add_co_u32 v0, vcc_lo, s2, v0
	s_delay_alu instid0(VALU_DEP_2)
	v_add_co_ci_u32_e32 v1, vcc_lo, s3, v1, vcc_lo
	global_store_b64 v[0:1], v[3:4], off
                                        ; implicit-def: $vgpr1_vgpr2
                                        ; implicit-def: $vgpr3_vgpr4
.LBB66_33:
	s_and_not1_saveexec_b32 s0, s0
	s_cbranch_execz .LBB66_35
; %bb.34:
	v_mov_b32_e32 v6, 0
	s_delay_alu instid0(VALU_DEP_1) | instskip(NEXT) | instid1(VALU_DEP_1)
	v_lshlrev_b64 v[5:6], 3, v[5:6]
	v_add_co_u32 v5, vcc_lo, s2, v5
	s_delay_alu instid0(VALU_DEP_2)
	v_add_co_ci_u32_e32 v6, vcc_lo, s3, v6, vcc_lo
	global_load_b64 v[7:8], v[5:6], off
	s_waitcnt vmcnt(0)
	v_fma_f64 v[0:1], v[1:2], v[7:8], v[3:4]
	global_store_b64 v[5:6], v[0:1], off
.LBB66_35:
	s_nop 0
	s_sendmsg sendmsg(MSG_DEALLOC_VGPRS)
	s_endpgm
	.section	.rodata,"a",@progbits
	.p2align	6, 0x0
	.amdhsa_kernel _ZN9rocsparseL22gebsrmvn_mxn_16_kernelILj112ELj16ELj7EdEEvi20rocsparse_direction_NS_24const_host_device_scalarIT2_EEPKiS6_PKS3_iiS8_S4_PS3_21rocsparse_index_base_b
		.amdhsa_group_segment_fixed_size 896
		.amdhsa_private_segment_fixed_size 0
		.amdhsa_kernarg_size 80
		.amdhsa_user_sgpr_count 15
		.amdhsa_user_sgpr_dispatch_ptr 0
		.amdhsa_user_sgpr_queue_ptr 0
		.amdhsa_user_sgpr_kernarg_segment_ptr 1
		.amdhsa_user_sgpr_dispatch_id 0
		.amdhsa_user_sgpr_private_segment_size 0
		.amdhsa_wavefront_size32 1
		.amdhsa_uses_dynamic_stack 0
		.amdhsa_enable_private_segment 0
		.amdhsa_system_sgpr_workgroup_id_x 1
		.amdhsa_system_sgpr_workgroup_id_y 0
		.amdhsa_system_sgpr_workgroup_id_z 0
		.amdhsa_system_sgpr_workgroup_info 0
		.amdhsa_system_vgpr_workitem_id 0
		.amdhsa_next_free_vgpr 17
		.amdhsa_next_free_sgpr 16
		.amdhsa_reserve_vcc 1
		.amdhsa_float_round_mode_32 0
		.amdhsa_float_round_mode_16_64 0
		.amdhsa_float_denorm_mode_32 3
		.amdhsa_float_denorm_mode_16_64 3
		.amdhsa_dx10_clamp 1
		.amdhsa_ieee_mode 1
		.amdhsa_fp16_overflow 0
		.amdhsa_workgroup_processor_mode 1
		.amdhsa_memory_ordered 1
		.amdhsa_forward_progress 0
		.amdhsa_shared_vgpr_count 0
		.amdhsa_exception_fp_ieee_invalid_op 0
		.amdhsa_exception_fp_denorm_src 0
		.amdhsa_exception_fp_ieee_div_zero 0
		.amdhsa_exception_fp_ieee_overflow 0
		.amdhsa_exception_fp_ieee_underflow 0
		.amdhsa_exception_fp_ieee_inexact 0
		.amdhsa_exception_int_div_zero 0
	.end_amdhsa_kernel
	.section	.text._ZN9rocsparseL22gebsrmvn_mxn_16_kernelILj112ELj16ELj7EdEEvi20rocsparse_direction_NS_24const_host_device_scalarIT2_EEPKiS6_PKS3_iiS8_S4_PS3_21rocsparse_index_base_b,"axG",@progbits,_ZN9rocsparseL22gebsrmvn_mxn_16_kernelILj112ELj16ELj7EdEEvi20rocsparse_direction_NS_24const_host_device_scalarIT2_EEPKiS6_PKS3_iiS8_S4_PS3_21rocsparse_index_base_b,comdat
.Lfunc_end66:
	.size	_ZN9rocsparseL22gebsrmvn_mxn_16_kernelILj112ELj16ELj7EdEEvi20rocsparse_direction_NS_24const_host_device_scalarIT2_EEPKiS6_PKS3_iiS8_S4_PS3_21rocsparse_index_base_b, .Lfunc_end66-_ZN9rocsparseL22gebsrmvn_mxn_16_kernelILj112ELj16ELj7EdEEvi20rocsparse_direction_NS_24const_host_device_scalarIT2_EEPKiS6_PKS3_iiS8_S4_PS3_21rocsparse_index_base_b
                                        ; -- End function
	.section	.AMDGPU.csdata,"",@progbits
; Kernel info:
; codeLenInByte = 1308
; NumSgprs: 18
; NumVgprs: 17
; ScratchSize: 0
; MemoryBound: 0
; FloatMode: 240
; IeeeMode: 1
; LDSByteSize: 896 bytes/workgroup (compile time only)
; SGPRBlocks: 2
; VGPRBlocks: 2
; NumSGPRsForWavesPerEU: 18
; NumVGPRsForWavesPerEU: 17
; Occupancy: 16
; WaveLimiterHint : 1
; COMPUTE_PGM_RSRC2:SCRATCH_EN: 0
; COMPUTE_PGM_RSRC2:USER_SGPR: 15
; COMPUTE_PGM_RSRC2:TRAP_HANDLER: 0
; COMPUTE_PGM_RSRC2:TGID_X_EN: 1
; COMPUTE_PGM_RSRC2:TGID_Y_EN: 0
; COMPUTE_PGM_RSRC2:TGID_Z_EN: 0
; COMPUTE_PGM_RSRC2:TIDIG_COMP_CNT: 0
	.section	.text._ZN9rocsparseL22gebsrmvn_mxn_16_kernelILj128ELj16ELj8EdEEvi20rocsparse_direction_NS_24const_host_device_scalarIT2_EEPKiS6_PKS3_iiS8_S4_PS3_21rocsparse_index_base_b,"axG",@progbits,_ZN9rocsparseL22gebsrmvn_mxn_16_kernelILj128ELj16ELj8EdEEvi20rocsparse_direction_NS_24const_host_device_scalarIT2_EEPKiS6_PKS3_iiS8_S4_PS3_21rocsparse_index_base_b,comdat
	.globl	_ZN9rocsparseL22gebsrmvn_mxn_16_kernelILj128ELj16ELj8EdEEvi20rocsparse_direction_NS_24const_host_device_scalarIT2_EEPKiS6_PKS3_iiS8_S4_PS3_21rocsparse_index_base_b ; -- Begin function _ZN9rocsparseL22gebsrmvn_mxn_16_kernelILj128ELj16ELj8EdEEvi20rocsparse_direction_NS_24const_host_device_scalarIT2_EEPKiS6_PKS3_iiS8_S4_PS3_21rocsparse_index_base_b
	.p2align	8
	.type	_ZN9rocsparseL22gebsrmvn_mxn_16_kernelILj128ELj16ELj8EdEEvi20rocsparse_direction_NS_24const_host_device_scalarIT2_EEPKiS6_PKS3_iiS8_S4_PS3_21rocsparse_index_base_b,@function
_ZN9rocsparseL22gebsrmvn_mxn_16_kernelILj128ELj16ELj8EdEEvi20rocsparse_direction_NS_24const_host_device_scalarIT2_EEPKiS6_PKS3_iiS8_S4_PS3_21rocsparse_index_base_b: ; @_ZN9rocsparseL22gebsrmvn_mxn_16_kernelILj128ELj16ELj8EdEEvi20rocsparse_direction_NS_24const_host_device_scalarIT2_EEPKiS6_PKS3_iiS8_S4_PS3_21rocsparse_index_base_b
; %bb.0:
	s_clause 0x2
	s_load_b64 s[10:11], s[0:1], 0x48
	s_load_b64 s[4:5], s[0:1], 0x8
	;; [unrolled: 1-line block ×3, first 2 shown]
	s_mov_b32 s8, s15
	s_waitcnt lgkmcnt(0)
	s_bitcmp1_b32 s11, 0
	v_dual_mov_b32 v3, s4 :: v_dual_mov_b32 v4, s5
	s_cselect_b32 s6, -1, 0
	s_delay_alu instid0(SALU_CYCLE_1)
	s_and_b32 vcc_lo, exec_lo, s6
	s_xor_b32 s6, s6, -1
	s_cbranch_vccnz .LBB67_2
; %bb.1:
	v_dual_mov_b32 v1, s4 :: v_dual_mov_b32 v2, s5
	flat_load_b64 v[3:4], v[1:2]
.LBB67_2:
	v_dual_mov_b32 v1, s2 :: v_dual_mov_b32 v2, s3
	s_and_not1_b32 vcc_lo, exec_lo, s6
	s_cbranch_vccnz .LBB67_4
; %bb.3:
	v_dual_mov_b32 v1, s2 :: v_dual_mov_b32 v2, s3
	flat_load_b64 v[1:2], v[1:2]
.LBB67_4:
	s_waitcnt vmcnt(0) lgkmcnt(0)
	v_cmp_neq_f64_e32 vcc_lo, 0, v[3:4]
	v_cmp_neq_f64_e64 s2, 1.0, v[1:2]
	s_delay_alu instid0(VALU_DEP_1) | instskip(NEXT) | instid1(SALU_CYCLE_1)
	s_or_b32 s2, vcc_lo, s2
	s_and_saveexec_b32 s3, s2
	s_cbranch_execz .LBB67_35
; %bb.5:
	s_clause 0x2
	s_load_b64 s[2:3], s[0:1], 0x40
	s_load_b32 s6, s[0:1], 0x4
	s_load_b64 s[4:5], s[0:1], 0x10
	v_dual_mov_b32 v5, 0 :: v_dual_and_b32 v10, 7, v0
	v_mov_b32_e32 v6, 0
	s_waitcnt lgkmcnt(0)
	s_cmp_eq_u32 s6, 1
	s_cselect_b32 vcc_lo, -1, 0
	s_cmp_lg_u32 s6, 1
	s_cselect_b32 s11, -1, 0
	s_ashr_i32 s9, s8, 31
	s_delay_alu instid0(SALU_CYCLE_1) | instskip(NEXT) | instid1(SALU_CYCLE_1)
	s_lshl_b64 s[6:7], s[8:9], 2
	s_add_u32 s4, s4, s6
	s_addc_u32 s5, s5, s7
	s_load_b64 s[12:13], s[4:5], 0x0
	s_waitcnt lgkmcnt(0)
	s_cmp_ge_i32 s12, s13
	s_cbranch_scc1 .LBB67_10
; %bb.6:
	s_clause 0x1
	s_load_b128 s[4:7], s[0:1], 0x18
	s_load_b64 s[0:1], s[0:1], 0x30
	v_lshrrev_b32_e32 v5, 4, v0
	v_lshl_or_b32 v6, s12, 7, v0
	s_lshl_b32 s9, s10, 7
	s_sub_i32 s12, s12, s10
	s_delay_alu instid0(VALU_DEP_2) | instskip(NEXT) | instid1(VALU_DEP_2)
	v_dual_mov_b32 v8, 0 :: v_dual_cndmask_b32 v9, v10, v5
	v_subrev_nc_u32_e32 v7, s9, v6
	v_mov_b32_e32 v5, 0
	v_mov_b32_e32 v6, 0
	s_sub_i32 s9, s13, s10
	s_set_inst_prefetch_distance 0x1
	s_branch .LBB67_8
	.p2align	6
.LBB67_7:                               ;   in Loop: Header=BB67_8 Depth=1
	s_or_b32 exec_lo, exec_lo, s13
	v_add_nc_u32_e32 v7, 0x80, v7
	s_add_i32 s12, s12, 1
	s_delay_alu instid0(SALU_CYCLE_1)
	s_cmp_ge_i32 s12, s9
	s_cbranch_scc1 .LBB67_10
.LBB67_8:                               ; =>This Inner Loop Header: Depth=1
	s_cmp_lt_i32 s12, s9
	s_cselect_b32 s14, -1, 0
	s_delay_alu instid0(SALU_CYCLE_1)
	s_and_saveexec_b32 s13, s14
	s_cbranch_execz .LBB67_7
; %bb.9:                                ;   in Loop: Header=BB67_8 Depth=1
	v_mov_b32_e32 v11, s12
	v_ashrrev_i32_e64 v12, 31, s12
	v_lshlrev_b64 v[13:14], 3, v[7:8]
	s_delay_alu instid0(VALU_DEP_2) | instskip(SKIP_1) | instid1(VALU_DEP_1)
	v_lshlrev_b64 v[11:12], 2, v[11:12]
	s_waitcnt lgkmcnt(0)
	v_add_co_u32 v11, vcc_lo, s4, v11
	s_delay_alu instid0(VALU_DEP_2) | instskip(NEXT) | instid1(VALU_DEP_4)
	v_add_co_ci_u32_e32 v12, vcc_lo, s5, v12, vcc_lo
	v_add_co_u32 v13, vcc_lo, s6, v13
	v_add_co_ci_u32_e32 v14, vcc_lo, s7, v14, vcc_lo
	global_load_b32 v11, v[11:12], off
	s_waitcnt vmcnt(0)
	v_subrev_nc_u32_e32 v11, s10, v11
	s_delay_alu instid0(VALU_DEP_1) | instskip(NEXT) | instid1(VALU_DEP_1)
	v_lshl_or_b32 v11, v11, 3, v9
	v_ashrrev_i32_e32 v12, 31, v11
	s_delay_alu instid0(VALU_DEP_1) | instskip(NEXT) | instid1(VALU_DEP_1)
	v_lshlrev_b64 v[11:12], 3, v[11:12]
	v_add_co_u32 v11, vcc_lo, s0, v11
	s_delay_alu instid0(VALU_DEP_2)
	v_add_co_ci_u32_e32 v12, vcc_lo, s1, v12, vcc_lo
	global_load_b64 v[13:14], v[13:14], off
	global_load_b64 v[11:12], v[11:12], off
	s_waitcnt vmcnt(0)
	v_fma_f64 v[5:6], v[13:14], v[11:12], v[5:6]
	s_branch .LBB67_7
.LBB67_10:
	s_set_inst_prefetch_distance 0x2
	v_lshlrev_b32_e32 v9, 3, v0
	s_and_b32 vcc_lo, exec_lo, s11
	ds_store_b64 v9, v[5:6]
	s_waitcnt lgkmcnt(0)
	s_barrier
	buffer_gl0_inv
	s_cbranch_vccz .LBB67_20
; %bb.11:
	s_mov_b32 s0, exec_lo
	v_cmpx_gt_u32_e32 4, v10
	s_cbranch_execz .LBB67_13
; %bb.12:
	ds_load_2addr_b64 v[11:14], v9 offset1:4
	s_waitcnt lgkmcnt(0)
	v_add_f64 v[7:8], v[13:14], v[11:12]
	ds_store_b64 v9, v[7:8]
.LBB67_13:
	s_or_b32 exec_lo, exec_lo, s0
	s_delay_alu instid0(SALU_CYCLE_1)
	s_mov_b32 s0, exec_lo
	s_waitcnt lgkmcnt(0)
	s_barrier
	buffer_gl0_inv
	v_cmpx_gt_u32_e32 2, v10
	s_cbranch_execz .LBB67_15
; %bb.14:
	ds_load_2addr_b64 v[11:14], v9 offset1:2
	s_waitcnt lgkmcnt(0)
	v_add_f64 v[7:8], v[13:14], v[11:12]
	ds_store_b64 v9, v[7:8]
.LBB67_15:
	s_or_b32 exec_lo, exec_lo, s0
	s_delay_alu instid0(SALU_CYCLE_1)
	s_mov_b32 s0, exec_lo
	s_waitcnt lgkmcnt(0)
	s_barrier
	buffer_gl0_inv
	v_cmpx_eq_u32_e32 0, v10
	s_cbranch_execz .LBB67_17
; %bb.16:
	ds_load_2addr_b64 v[10:13], v9 offset1:1
	s_waitcnt lgkmcnt(0)
	v_add_f64 v[7:8], v[12:13], v[10:11]
	ds_store_b64 v9, v[7:8]
.LBB67_17:
	s_or_b32 exec_lo, exec_lo, s0
	v_dual_mov_b32 v8, v6 :: v_dual_mov_b32 v7, v5
	s_mov_b32 s0, exec_lo
	s_waitcnt lgkmcnt(0)
	s_barrier
	buffer_gl0_inv
	v_cmpx_gt_u32_e32 16, v0
	s_cbranch_execz .LBB67_19
; %bb.18:
	v_mad_u32_u24 v7, v0, 56, v9
	ds_load_b64 v[7:8], v7
.LBB67_19:
	s_or_b32 exec_lo, exec_lo, s0
	s_branch .LBB67_30
.LBB67_20:
                                        ; implicit-def: $vgpr7_vgpr8
	s_cbranch_execz .LBB67_30
; %bb.21:
	s_mov_b32 s0, exec_lo
	v_cmpx_gt_u32_e32 64, v0
	s_cbranch_execz .LBB67_23
; %bb.22:
	ds_load_2addr_stride64_b64 v[10:13], v9 offset1:1
	s_waitcnt lgkmcnt(0)
	v_add_f64 v[7:8], v[12:13], v[10:11]
	ds_store_b64 v9, v[7:8]
.LBB67_23:
	s_or_b32 exec_lo, exec_lo, s0
	s_delay_alu instid0(SALU_CYCLE_1)
	s_mov_b32 s0, exec_lo
	s_waitcnt lgkmcnt(0)
	s_barrier
	buffer_gl0_inv
	v_cmpx_gt_u32_e32 32, v0
	s_cbranch_execz .LBB67_25
; %bb.24:
	ds_load_2addr_b64 v[10:13], v9 offset1:32
	s_waitcnt lgkmcnt(0)
	v_add_f64 v[7:8], v[12:13], v[10:11]
	ds_store_b64 v9, v[7:8]
.LBB67_25:
	s_or_b32 exec_lo, exec_lo, s0
	s_delay_alu instid0(SALU_CYCLE_1)
	s_mov_b32 s0, exec_lo
	s_waitcnt lgkmcnt(0)
	buffer_gl0_inv
	v_cmpx_lt_u32_e32 15, v0
	s_xor_b32 s0, exec_lo, s0
	s_cbranch_execz .LBB67_27
; %bb.26:
	buffer_gl0_inv
                                        ; implicit-def: $vgpr9
.LBB67_27:
	s_and_not1_saveexec_b32 s0, s0
	s_cbranch_execz .LBB67_29
; %bb.28:
	ds_load_2addr_b64 v[5:8], v9 offset1:16
	s_waitcnt lgkmcnt(0)
	v_add_f64 v[5:6], v[7:8], v[5:6]
	ds_store_b64 v9, v[5:6]
	s_waitcnt lgkmcnt(0)
	buffer_gl0_inv
	ds_load_b64 v[5:6], v9
.LBB67_29:
	s_or_b32 exec_lo, exec_lo, s0
	s_waitcnt lgkmcnt(0)
	v_dual_mov_b32 v8, v6 :: v_dual_mov_b32 v7, v5
.LBB67_30:
	v_cmp_gt_u32_e32 vcc_lo, 16, v0
	s_and_b32 exec_lo, exec_lo, vcc_lo
	s_cbranch_execz .LBB67_35
; %bb.31:
	s_waitcnt lgkmcnt(0)
	v_mul_f64 v[3:4], v[3:4], v[7:8]
	v_lshl_or_b32 v5, s8, 4, v0
	s_mov_b32 s0, exec_lo
	v_cmpx_eq_f64_e32 0, v[1:2]
	s_xor_b32 s0, exec_lo, s0
	s_cbranch_execz .LBB67_33
; %bb.32:
	v_mov_b32_e32 v6, 0
	s_delay_alu instid0(VALU_DEP_1) | instskip(NEXT) | instid1(VALU_DEP_1)
	v_lshlrev_b64 v[0:1], 3, v[5:6]
                                        ; implicit-def: $vgpr5
	v_add_co_u32 v0, vcc_lo, s2, v0
	s_delay_alu instid0(VALU_DEP_2)
	v_add_co_ci_u32_e32 v1, vcc_lo, s3, v1, vcc_lo
	global_store_b64 v[0:1], v[3:4], off
                                        ; implicit-def: $vgpr1_vgpr2
                                        ; implicit-def: $vgpr3_vgpr4
.LBB67_33:
	s_and_not1_saveexec_b32 s0, s0
	s_cbranch_execz .LBB67_35
; %bb.34:
	v_mov_b32_e32 v6, 0
	s_delay_alu instid0(VALU_DEP_1) | instskip(NEXT) | instid1(VALU_DEP_1)
	v_lshlrev_b64 v[5:6], 3, v[5:6]
	v_add_co_u32 v5, vcc_lo, s2, v5
	s_delay_alu instid0(VALU_DEP_2)
	v_add_co_ci_u32_e32 v6, vcc_lo, s3, v6, vcc_lo
	global_load_b64 v[7:8], v[5:6], off
	s_waitcnt vmcnt(0)
	v_fma_f64 v[0:1], v[1:2], v[7:8], v[3:4]
	global_store_b64 v[5:6], v[0:1], off
.LBB67_35:
	s_nop 0
	s_sendmsg sendmsg(MSG_DEALLOC_VGPRS)
	s_endpgm
	.section	.rodata,"a",@progbits
	.p2align	6, 0x0
	.amdhsa_kernel _ZN9rocsparseL22gebsrmvn_mxn_16_kernelILj128ELj16ELj8EdEEvi20rocsparse_direction_NS_24const_host_device_scalarIT2_EEPKiS6_PKS3_iiS8_S4_PS3_21rocsparse_index_base_b
		.amdhsa_group_segment_fixed_size 1024
		.amdhsa_private_segment_fixed_size 0
		.amdhsa_kernarg_size 80
		.amdhsa_user_sgpr_count 15
		.amdhsa_user_sgpr_dispatch_ptr 0
		.amdhsa_user_sgpr_queue_ptr 0
		.amdhsa_user_sgpr_kernarg_segment_ptr 1
		.amdhsa_user_sgpr_dispatch_id 0
		.amdhsa_user_sgpr_private_segment_size 0
		.amdhsa_wavefront_size32 1
		.amdhsa_uses_dynamic_stack 0
		.amdhsa_enable_private_segment 0
		.amdhsa_system_sgpr_workgroup_id_x 1
		.amdhsa_system_sgpr_workgroup_id_y 0
		.amdhsa_system_sgpr_workgroup_id_z 0
		.amdhsa_system_sgpr_workgroup_info 0
		.amdhsa_system_vgpr_workitem_id 0
		.amdhsa_next_free_vgpr 15
		.amdhsa_next_free_sgpr 16
		.amdhsa_reserve_vcc 1
		.amdhsa_float_round_mode_32 0
		.amdhsa_float_round_mode_16_64 0
		.amdhsa_float_denorm_mode_32 3
		.amdhsa_float_denorm_mode_16_64 3
		.amdhsa_dx10_clamp 1
		.amdhsa_ieee_mode 1
		.amdhsa_fp16_overflow 0
		.amdhsa_workgroup_processor_mode 1
		.amdhsa_memory_ordered 1
		.amdhsa_forward_progress 0
		.amdhsa_shared_vgpr_count 0
		.amdhsa_exception_fp_ieee_invalid_op 0
		.amdhsa_exception_fp_denorm_src 0
		.amdhsa_exception_fp_ieee_div_zero 0
		.amdhsa_exception_fp_ieee_overflow 0
		.amdhsa_exception_fp_ieee_underflow 0
		.amdhsa_exception_fp_ieee_inexact 0
		.amdhsa_exception_int_div_zero 0
	.end_amdhsa_kernel
	.section	.text._ZN9rocsparseL22gebsrmvn_mxn_16_kernelILj128ELj16ELj8EdEEvi20rocsparse_direction_NS_24const_host_device_scalarIT2_EEPKiS6_PKS3_iiS8_S4_PS3_21rocsparse_index_base_b,"axG",@progbits,_ZN9rocsparseL22gebsrmvn_mxn_16_kernelILj128ELj16ELj8EdEEvi20rocsparse_direction_NS_24const_host_device_scalarIT2_EEPKiS6_PKS3_iiS8_S4_PS3_21rocsparse_index_base_b,comdat
.Lfunc_end67:
	.size	_ZN9rocsparseL22gebsrmvn_mxn_16_kernelILj128ELj16ELj8EdEEvi20rocsparse_direction_NS_24const_host_device_scalarIT2_EEPKiS6_PKS3_iiS8_S4_PS3_21rocsparse_index_base_b, .Lfunc_end67-_ZN9rocsparseL22gebsrmvn_mxn_16_kernelILj128ELj16ELj8EdEEvi20rocsparse_direction_NS_24const_host_device_scalarIT2_EEPKiS6_PKS3_iiS8_S4_PS3_21rocsparse_index_base_b
                                        ; -- End function
	.section	.AMDGPU.csdata,"",@progbits
; Kernel info:
; codeLenInByte = 1192
; NumSgprs: 18
; NumVgprs: 15
; ScratchSize: 0
; MemoryBound: 0
; FloatMode: 240
; IeeeMode: 1
; LDSByteSize: 1024 bytes/workgroup (compile time only)
; SGPRBlocks: 2
; VGPRBlocks: 1
; NumSGPRsForWavesPerEU: 18
; NumVGPRsForWavesPerEU: 15
; Occupancy: 16
; WaveLimiterHint : 1
; COMPUTE_PGM_RSRC2:SCRATCH_EN: 0
; COMPUTE_PGM_RSRC2:USER_SGPR: 15
; COMPUTE_PGM_RSRC2:TRAP_HANDLER: 0
; COMPUTE_PGM_RSRC2:TGID_X_EN: 1
; COMPUTE_PGM_RSRC2:TGID_Y_EN: 0
; COMPUTE_PGM_RSRC2:TGID_Z_EN: 0
; COMPUTE_PGM_RSRC2:TIDIG_COMP_CNT: 0
	.section	.text._ZN9rocsparseL22gebsrmvn_mxn_16_kernelILj52ELj13ELj1E21rocsparse_complex_numIfEEEvi20rocsparse_direction_NS_24const_host_device_scalarIT2_EEPKiS8_PKS5_iiSA_S6_PS5_21rocsparse_index_base_b,"axG",@progbits,_ZN9rocsparseL22gebsrmvn_mxn_16_kernelILj52ELj13ELj1E21rocsparse_complex_numIfEEEvi20rocsparse_direction_NS_24const_host_device_scalarIT2_EEPKiS8_PKS5_iiSA_S6_PS5_21rocsparse_index_base_b,comdat
	.globl	_ZN9rocsparseL22gebsrmvn_mxn_16_kernelILj52ELj13ELj1E21rocsparse_complex_numIfEEEvi20rocsparse_direction_NS_24const_host_device_scalarIT2_EEPKiS8_PKS5_iiSA_S6_PS5_21rocsparse_index_base_b ; -- Begin function _ZN9rocsparseL22gebsrmvn_mxn_16_kernelILj52ELj13ELj1E21rocsparse_complex_numIfEEEvi20rocsparse_direction_NS_24const_host_device_scalarIT2_EEPKiS8_PKS5_iiSA_S6_PS5_21rocsparse_index_base_b
	.p2align	8
	.type	_ZN9rocsparseL22gebsrmvn_mxn_16_kernelILj52ELj13ELj1E21rocsparse_complex_numIfEEEvi20rocsparse_direction_NS_24const_host_device_scalarIT2_EEPKiS8_PKS5_iiSA_S6_PS5_21rocsparse_index_base_b,@function
_ZN9rocsparseL22gebsrmvn_mxn_16_kernelILj52ELj13ELj1E21rocsparse_complex_numIfEEEvi20rocsparse_direction_NS_24const_host_device_scalarIT2_EEPKiS8_PKS5_iiSA_S6_PS5_21rocsparse_index_base_b: ; @_ZN9rocsparseL22gebsrmvn_mxn_16_kernelILj52ELj13ELj1E21rocsparse_complex_numIfEEEvi20rocsparse_direction_NS_24const_host_device_scalarIT2_EEPKiS8_PKS5_iiSA_S6_PS5_21rocsparse_index_base_b
; %bb.0:
	s_clause 0x2
	s_load_b64 s[10:11], s[0:1], 0x48
	s_load_b64 s[4:5], s[0:1], 0x8
	;; [unrolled: 1-line block ×3, first 2 shown]
	s_mov_b32 s8, s15
	s_waitcnt lgkmcnt(0)
	s_bitcmp1_b32 s11, 0
	v_mov_b32_e32 v9, s4
	s_cselect_b32 s6, -1, 0
	s_delay_alu instid0(SALU_CYCLE_1)
	s_and_b32 vcc_lo, exec_lo, s6
	s_xor_b32 s6, s6, -1
	s_cbranch_vccz .LBB68_10
; %bb.1:
	v_cndmask_b32_e64 v1, 0, 1, s6
	v_mov_b32_e32 v10, s5
	s_and_not1_b32 vcc_lo, exec_lo, s6
	s_cbranch_vccz .LBB68_11
.LBB68_2:
	s_delay_alu instid0(VALU_DEP_2)
	v_cmp_ne_u32_e32 vcc_lo, 1, v1
	v_mov_b32_e32 v7, s2
	s_cbranch_vccz .LBB68_12
.LBB68_3:
	v_cmp_ne_u32_e32 vcc_lo, 1, v1
	v_mov_b32_e32 v8, s3
	s_cbranch_vccnz .LBB68_5
.LBB68_4:
	v_dual_mov_b32 v1, s2 :: v_dual_mov_b32 v2, s3
	flat_load_b32 v8, v[1:2] offset:4
.LBB68_5:
	s_waitcnt vmcnt(0) lgkmcnt(0)
	v_cmp_eq_f32_e32 vcc_lo, 0, v9
	v_cmp_eq_f32_e64 s2, 0, v10
	s_delay_alu instid0(VALU_DEP_1)
	s_and_b32 s4, vcc_lo, s2
	s_mov_b32 s2, -1
	s_and_saveexec_b32 s3, s4
; %bb.6:
	v_cmp_neq_f32_e32 vcc_lo, 1.0, v7
	v_cmp_neq_f32_e64 s2, 0, v8
	s_delay_alu instid0(VALU_DEP_1) | instskip(NEXT) | instid1(SALU_CYCLE_1)
	s_or_b32 s2, vcc_lo, s2
	s_or_not1_b32 s2, s2, exec_lo
; %bb.7:
	s_or_b32 exec_lo, exec_lo, s3
	s_and_saveexec_b32 s3, s2
	s_cbranch_execz .LBB68_30
; %bb.8:
	s_load_b64 s[2:3], s[0:1], 0x10
	s_ashr_i32 s9, s8, 31
	s_delay_alu instid0(SALU_CYCLE_1)
	s_lshl_b64 s[4:5], s[8:9], 2
	s_waitcnt lgkmcnt(0)
	s_add_u32 s2, s2, s4
	s_addc_u32 s3, s3, s5
	s_load_b64 s[12:13], s[2:3], 0x0
	s_waitcnt lgkmcnt(0)
	s_cmp_lt_i32 s12, s13
	s_cbranch_scc1 .LBB68_13
; %bb.9:
	s_mov_b32 s4, 0
	s_mov_b32 s5, 0
	s_branch .LBB68_14
.LBB68_10:
	v_dual_mov_b32 v1, s4 :: v_dual_mov_b32 v2, s5
	flat_load_b32 v9, v[1:2]
	v_cndmask_b32_e64 v1, 0, 1, s6
	v_mov_b32_e32 v10, s5
	s_and_not1_b32 vcc_lo, exec_lo, s6
	s_cbranch_vccnz .LBB68_2
.LBB68_11:
	v_dual_mov_b32 v2, s4 :: v_dual_mov_b32 v3, s5
	flat_load_b32 v10, v[2:3] offset:4
	v_cmp_ne_u32_e32 vcc_lo, 1, v1
	v_mov_b32_e32 v7, s2
	s_cbranch_vccnz .LBB68_3
.LBB68_12:
	v_dual_mov_b32 v2, s2 :: v_dual_mov_b32 v3, s3
	flat_load_b32 v7, v[2:3]
	v_cmp_ne_u32_e32 vcc_lo, 1, v1
	v_mov_b32_e32 v8, s3
	s_cbranch_vccz .LBB68_4
	s_branch .LBB68_5
.LBB68_13:
	s_mov_b32 s4, -1
                                        ; implicit-def: $sgpr5
.LBB68_14:
	s_load_b64 s[2:3], s[0:1], 0x40
	v_dual_mov_b32 v2, s5 :: v_dual_mov_b32 v1, s5
	s_and_not1_b32 vcc_lo, exec_lo, s4
	s_cbranch_vccnz .LBB68_19
; %bb.15:
	s_clause 0x1
	s_load_b128 s[4:7], s[0:1], 0x18
	s_load_b64 s[0:1], s[0:1], 0x30
	v_mad_u64_u32 v[1:2], null, s12, 13, v[0:1]
	v_mul_u32_u24_e32 v3, 0x13b2, v0
	v_mov_b32_e32 v2, 0
	s_mul_i32 s9, s10, 13
	v_mov_b32_e32 v4, 0
	s_sub_i32 s11, s12, s10
	v_lshrrev_b32_e32 v11, 16, v3
	v_subrev_nc_u32_e32 v3, s9, v1
	v_mov_b32_e32 v1, v2
	s_sub_i32 s9, s13, s10
	s_set_inst_prefetch_distance 0x1
	s_branch .LBB68_17
	.p2align	6
.LBB68_16:                              ;   in Loop: Header=BB68_17 Depth=1
	s_or_b32 exec_lo, exec_lo, s12
	v_add_nc_u32_e32 v3, 52, v3
	s_add_i32 s11, s11, 4
	s_delay_alu instid0(SALU_CYCLE_1)
	s_cmp_ge_i32 s11, s9
	s_cbranch_scc1 .LBB68_19
.LBB68_17:                              ; =>This Inner Loop Header: Depth=1
	v_add_nc_u32_e32 v5, s11, v11
	s_mov_b32 s12, exec_lo
	s_delay_alu instid0(VALU_DEP_1)
	v_cmpx_gt_i32_e64 s9, v5
	s_cbranch_execz .LBB68_16
; %bb.18:                               ;   in Loop: Header=BB68_17 Depth=1
	v_ashrrev_i32_e32 v6, 31, v5
	v_lshlrev_b64 v[12:13], 3, v[3:4]
	s_delay_alu instid0(VALU_DEP_2) | instskip(SKIP_1) | instid1(VALU_DEP_1)
	v_lshlrev_b64 v[5:6], 2, v[5:6]
	s_waitcnt lgkmcnt(0)
	v_add_co_u32 v5, vcc_lo, s4, v5
	s_delay_alu instid0(VALU_DEP_2) | instskip(NEXT) | instid1(VALU_DEP_4)
	v_add_co_ci_u32_e32 v6, vcc_lo, s5, v6, vcc_lo
	v_add_co_u32 v12, vcc_lo, s6, v12
	v_add_co_ci_u32_e32 v13, vcc_lo, s7, v13, vcc_lo
	global_load_b32 v5, v[5:6], off
	s_waitcnt vmcnt(0)
	v_subrev_nc_u32_e32 v5, s10, v5
	s_delay_alu instid0(VALU_DEP_1) | instskip(NEXT) | instid1(VALU_DEP_1)
	v_ashrrev_i32_e32 v6, 31, v5
	v_lshlrev_b64 v[5:6], 3, v[5:6]
	s_delay_alu instid0(VALU_DEP_1) | instskip(NEXT) | instid1(VALU_DEP_2)
	v_add_co_u32 v5, vcc_lo, s0, v5
	v_add_co_ci_u32_e32 v6, vcc_lo, s1, v6, vcc_lo
	global_load_b64 v[12:13], v[12:13], off
	global_load_b64 v[5:6], v[5:6], off
	s_waitcnt vmcnt(0)
	v_fmac_f32_e32 v1, v12, v5
	v_fmac_f32_e32 v2, v13, v5
	s_delay_alu instid0(VALU_DEP_2) | instskip(NEXT) | instid1(VALU_DEP_2)
	v_fma_f32 v1, -v13, v6, v1
	v_fmac_f32_e32 v2, v12, v6
	s_branch .LBB68_16
.LBB68_19:
	s_set_inst_prefetch_distance 0x2
	v_lshlrev_b32_e32 v3, 3, v0
	s_waitcnt lgkmcnt(0)
	s_mov_b32 s0, exec_lo
	ds_store_b64 v3, v[1:2]
	s_waitcnt lgkmcnt(0)
	s_barrier
	buffer_gl0_inv
	v_cmpx_gt_u32_e32 26, v0
	s_cbranch_execz .LBB68_21
; %bb.20:
	ds_load_2addr_b64 v[11:14], v3 offset1:26
	s_waitcnt lgkmcnt(0)
	v_dual_add_f32 v4, v13, v11 :: v_dual_add_f32 v5, v14, v12
	ds_store_b64 v3, v[4:5]
.LBB68_21:
	s_or_b32 exec_lo, exec_lo, s0
	v_cmp_gt_u32_e32 vcc_lo, 13, v0
	s_waitcnt lgkmcnt(0)
	s_barrier
	buffer_gl0_inv
	s_and_saveexec_b32 s0, vcc_lo
	s_cbranch_execz .LBB68_23
; %bb.22:
	ds_load_2addr_b64 v[11:14], v3 offset1:13
	s_waitcnt lgkmcnt(0)
	v_dual_add_f32 v4, v13, v11 :: v_dual_add_f32 v5, v14, v12
	ds_store_b64 v3, v[4:5]
.LBB68_23:
	s_or_b32 exec_lo, exec_lo, s0
	s_waitcnt lgkmcnt(0)
	s_barrier
	buffer_gl0_inv
	s_and_saveexec_b32 s0, vcc_lo
	s_cbranch_execz .LBB68_25
; %bb.24:
	ds_load_b64 v[1:2], v3
.LBB68_25:
	s_or_b32 exec_lo, exec_lo, s0
	s_delay_alu instid0(SALU_CYCLE_1)
	s_and_b32 exec_lo, exec_lo, vcc_lo
	s_cbranch_execz .LBB68_30
; %bb.26:
	s_waitcnt lgkmcnt(0)
	v_mul_f32_e64 v3, v2, -v10
	v_mul_f32_e32 v4, v2, v9
	v_cmp_eq_f32_e32 vcc_lo, 0, v7
	v_cmp_eq_f32_e64 s0, 0, v8
	s_delay_alu instid0(VALU_DEP_4) | instskip(NEXT) | instid1(VALU_DEP_4)
	v_fmac_f32_e32 v3, v9, v1
	v_fmac_f32_e32 v4, v10, v1
	s_delay_alu instid0(VALU_DEP_3) | instskip(NEXT) | instid1(SALU_CYCLE_1)
	s_and_b32 s0, vcc_lo, s0
	s_and_saveexec_b32 s1, s0
	s_delay_alu instid0(SALU_CYCLE_1)
	s_xor_b32 s0, exec_lo, s1
	s_cbranch_execz .LBB68_28
; %bb.27:
	v_mad_u64_u32 v[1:2], null, s8, 13, v[0:1]
	v_mov_b32_e32 v2, 0
                                        ; implicit-def: $vgpr7
                                        ; implicit-def: $vgpr8
	s_delay_alu instid0(VALU_DEP_1) | instskip(NEXT) | instid1(VALU_DEP_1)
	v_lshlrev_b64 v[0:1], 3, v[1:2]
	v_add_co_u32 v0, vcc_lo, s2, v0
	s_delay_alu instid0(VALU_DEP_2)
	v_add_co_ci_u32_e32 v1, vcc_lo, s3, v1, vcc_lo
	global_store_b64 v[0:1], v[3:4], off
                                        ; implicit-def: $vgpr0
                                        ; implicit-def: $vgpr3
.LBB68_28:
	s_and_not1_saveexec_b32 s0, s0
	s_cbranch_execz .LBB68_30
; %bb.29:
	v_mad_u64_u32 v[1:2], null, s8, 13, v[0:1]
	v_mov_b32_e32 v2, 0
	s_delay_alu instid0(VALU_DEP_1) | instskip(NEXT) | instid1(VALU_DEP_1)
	v_lshlrev_b64 v[0:1], 3, v[1:2]
	v_add_co_u32 v0, vcc_lo, s2, v0
	s_delay_alu instid0(VALU_DEP_2) | instskip(SKIP_4) | instid1(VALU_DEP_2)
	v_add_co_ci_u32_e32 v1, vcc_lo, s3, v1, vcc_lo
	global_load_b64 v[5:6], v[0:1], off
	s_waitcnt vmcnt(0)
	v_fmac_f32_e32 v3, v7, v5
	v_fmac_f32_e32 v4, v8, v5
	v_fma_f32 v3, -v8, v6, v3
	s_delay_alu instid0(VALU_DEP_2)
	v_fmac_f32_e32 v4, v7, v6
	global_store_b64 v[0:1], v[3:4], off
.LBB68_30:
	s_nop 0
	s_sendmsg sendmsg(MSG_DEALLOC_VGPRS)
	s_endpgm
	.section	.rodata,"a",@progbits
	.p2align	6, 0x0
	.amdhsa_kernel _ZN9rocsparseL22gebsrmvn_mxn_16_kernelILj52ELj13ELj1E21rocsparse_complex_numIfEEEvi20rocsparse_direction_NS_24const_host_device_scalarIT2_EEPKiS8_PKS5_iiSA_S6_PS5_21rocsparse_index_base_b
		.amdhsa_group_segment_fixed_size 416
		.amdhsa_private_segment_fixed_size 0
		.amdhsa_kernarg_size 80
		.amdhsa_user_sgpr_count 15
		.amdhsa_user_sgpr_dispatch_ptr 0
		.amdhsa_user_sgpr_queue_ptr 0
		.amdhsa_user_sgpr_kernarg_segment_ptr 1
		.amdhsa_user_sgpr_dispatch_id 0
		.amdhsa_user_sgpr_private_segment_size 0
		.amdhsa_wavefront_size32 1
		.amdhsa_uses_dynamic_stack 0
		.amdhsa_enable_private_segment 0
		.amdhsa_system_sgpr_workgroup_id_x 1
		.amdhsa_system_sgpr_workgroup_id_y 0
		.amdhsa_system_sgpr_workgroup_id_z 0
		.amdhsa_system_sgpr_workgroup_info 0
		.amdhsa_system_vgpr_workitem_id 0
		.amdhsa_next_free_vgpr 15
		.amdhsa_next_free_sgpr 16
		.amdhsa_reserve_vcc 1
		.amdhsa_float_round_mode_32 0
		.amdhsa_float_round_mode_16_64 0
		.amdhsa_float_denorm_mode_32 3
		.amdhsa_float_denorm_mode_16_64 3
		.amdhsa_dx10_clamp 1
		.amdhsa_ieee_mode 1
		.amdhsa_fp16_overflow 0
		.amdhsa_workgroup_processor_mode 1
		.amdhsa_memory_ordered 1
		.amdhsa_forward_progress 0
		.amdhsa_shared_vgpr_count 0
		.amdhsa_exception_fp_ieee_invalid_op 0
		.amdhsa_exception_fp_denorm_src 0
		.amdhsa_exception_fp_ieee_div_zero 0
		.amdhsa_exception_fp_ieee_overflow 0
		.amdhsa_exception_fp_ieee_underflow 0
		.amdhsa_exception_fp_ieee_inexact 0
		.amdhsa_exception_int_div_zero 0
	.end_amdhsa_kernel
	.section	.text._ZN9rocsparseL22gebsrmvn_mxn_16_kernelILj52ELj13ELj1E21rocsparse_complex_numIfEEEvi20rocsparse_direction_NS_24const_host_device_scalarIT2_EEPKiS8_PKS5_iiSA_S6_PS5_21rocsparse_index_base_b,"axG",@progbits,_ZN9rocsparseL22gebsrmvn_mxn_16_kernelILj52ELj13ELj1E21rocsparse_complex_numIfEEEvi20rocsparse_direction_NS_24const_host_device_scalarIT2_EEPKiS8_PKS5_iiSA_S6_PS5_21rocsparse_index_base_b,comdat
.Lfunc_end68:
	.size	_ZN9rocsparseL22gebsrmvn_mxn_16_kernelILj52ELj13ELj1E21rocsparse_complex_numIfEEEvi20rocsparse_direction_NS_24const_host_device_scalarIT2_EEPKiS8_PKS5_iiSA_S6_PS5_21rocsparse_index_base_b, .Lfunc_end68-_ZN9rocsparseL22gebsrmvn_mxn_16_kernelILj52ELj13ELj1E21rocsparse_complex_numIfEEEvi20rocsparse_direction_NS_24const_host_device_scalarIT2_EEPKiS8_PKS5_iiSA_S6_PS5_21rocsparse_index_base_b
                                        ; -- End function
	.section	.AMDGPU.csdata,"",@progbits
; Kernel info:
; codeLenInByte = 1064
; NumSgprs: 18
; NumVgprs: 15
; ScratchSize: 0
; MemoryBound: 0
; FloatMode: 240
; IeeeMode: 1
; LDSByteSize: 416 bytes/workgroup (compile time only)
; SGPRBlocks: 2
; VGPRBlocks: 1
; NumSGPRsForWavesPerEU: 18
; NumVGPRsForWavesPerEU: 15
; Occupancy: 16
; WaveLimiterHint : 1
; COMPUTE_PGM_RSRC2:SCRATCH_EN: 0
; COMPUTE_PGM_RSRC2:USER_SGPR: 15
; COMPUTE_PGM_RSRC2:TRAP_HANDLER: 0
; COMPUTE_PGM_RSRC2:TGID_X_EN: 1
; COMPUTE_PGM_RSRC2:TGID_Y_EN: 0
; COMPUTE_PGM_RSRC2:TGID_Z_EN: 0
; COMPUTE_PGM_RSRC2:TIDIG_COMP_CNT: 0
	.section	.text._ZN9rocsparseL22gebsrmvn_mxn_16_kernelILj52ELj13ELj2E21rocsparse_complex_numIfEEEvi20rocsparse_direction_NS_24const_host_device_scalarIT2_EEPKiS8_PKS5_iiSA_S6_PS5_21rocsparse_index_base_b,"axG",@progbits,_ZN9rocsparseL22gebsrmvn_mxn_16_kernelILj52ELj13ELj2E21rocsparse_complex_numIfEEEvi20rocsparse_direction_NS_24const_host_device_scalarIT2_EEPKiS8_PKS5_iiSA_S6_PS5_21rocsparse_index_base_b,comdat
	.globl	_ZN9rocsparseL22gebsrmvn_mxn_16_kernelILj52ELj13ELj2E21rocsparse_complex_numIfEEEvi20rocsparse_direction_NS_24const_host_device_scalarIT2_EEPKiS8_PKS5_iiSA_S6_PS5_21rocsparse_index_base_b ; -- Begin function _ZN9rocsparseL22gebsrmvn_mxn_16_kernelILj52ELj13ELj2E21rocsparse_complex_numIfEEEvi20rocsparse_direction_NS_24const_host_device_scalarIT2_EEPKiS8_PKS5_iiSA_S6_PS5_21rocsparse_index_base_b
	.p2align	8
	.type	_ZN9rocsparseL22gebsrmvn_mxn_16_kernelILj52ELj13ELj2E21rocsparse_complex_numIfEEEvi20rocsparse_direction_NS_24const_host_device_scalarIT2_EEPKiS8_PKS5_iiSA_S6_PS5_21rocsparse_index_base_b,@function
_ZN9rocsparseL22gebsrmvn_mxn_16_kernelILj52ELj13ELj2E21rocsparse_complex_numIfEEEvi20rocsparse_direction_NS_24const_host_device_scalarIT2_EEPKiS8_PKS5_iiSA_S6_PS5_21rocsparse_index_base_b: ; @_ZN9rocsparseL22gebsrmvn_mxn_16_kernelILj52ELj13ELj2E21rocsparse_complex_numIfEEEvi20rocsparse_direction_NS_24const_host_device_scalarIT2_EEPKiS8_PKS5_iiSA_S6_PS5_21rocsparse_index_base_b
; %bb.0:
	s_clause 0x2
	s_load_b64 s[10:11], s[0:1], 0x48
	s_load_b64 s[4:5], s[0:1], 0x8
	;; [unrolled: 1-line block ×3, first 2 shown]
	s_mov_b32 s8, s15
	s_waitcnt lgkmcnt(0)
	s_bitcmp1_b32 s11, 0
	v_mov_b32_e32 v9, s4
	s_cselect_b32 s6, -1, 0
	s_delay_alu instid0(SALU_CYCLE_1)
	s_and_b32 vcc_lo, exec_lo, s6
	s_xor_b32 s6, s6, -1
	s_cbranch_vccz .LBB69_15
; %bb.1:
	v_cndmask_b32_e64 v1, 0, 1, s6
	v_mov_b32_e32 v10, s5
	s_and_not1_b32 vcc_lo, exec_lo, s6
	s_cbranch_vccz .LBB69_16
.LBB69_2:
	s_delay_alu instid0(VALU_DEP_2)
	v_cmp_ne_u32_e32 vcc_lo, 1, v1
	v_mov_b32_e32 v7, s2
	s_cbranch_vccz .LBB69_17
.LBB69_3:
	v_cmp_ne_u32_e32 vcc_lo, 1, v1
	v_mov_b32_e32 v8, s3
	s_cbranch_vccnz .LBB69_5
.LBB69_4:
	v_dual_mov_b32 v1, s2 :: v_dual_mov_b32 v2, s3
	flat_load_b32 v8, v[1:2] offset:4
.LBB69_5:
	s_waitcnt vmcnt(0) lgkmcnt(0)
	v_cmp_eq_f32_e32 vcc_lo, 0, v9
	v_cmp_eq_f32_e64 s2, 0, v10
	s_delay_alu instid0(VALU_DEP_1)
	s_and_b32 s4, vcc_lo, s2
	s_mov_b32 s2, -1
	s_and_saveexec_b32 s3, s4
; %bb.6:
	v_cmp_neq_f32_e32 vcc_lo, 1.0, v7
	v_cmp_neq_f32_e64 s2, 0, v8
	s_delay_alu instid0(VALU_DEP_1) | instskip(NEXT) | instid1(SALU_CYCLE_1)
	s_or_b32 s2, vcc_lo, s2
	s_or_not1_b32 s2, s2, exec_lo
; %bb.7:
	s_or_b32 exec_lo, exec_lo, s3
	s_and_saveexec_b32 s3, s2
	s_cbranch_execz .LBB69_37
; %bb.8:
	s_clause 0x1
	s_load_b32 s4, s[0:1], 0x4
	s_load_b64 s[2:3], s[0:1], 0x10
	v_and_b32_e32 v11, 1, v0
	s_delay_alu instid0(VALU_DEP_1) | instskip(SKIP_3) | instid1(SALU_CYCLE_1)
	v_mov_b32_e32 v12, v11
	s_waitcnt lgkmcnt(0)
	s_cmp_lg_u32 s4, 1
	s_cselect_b32 s11, -1, 0
	s_and_b32 vcc_lo, exec_lo, s11
	s_cbranch_vccnz .LBB69_10
; %bb.9:
	v_mul_u32_u24_e32 v1, 0x13b2, v0
	s_delay_alu instid0(VALU_DEP_1)
	v_bfe_u32 v12, v1, 16, 1
.LBB69_10:
	s_ashr_i32 s9, s8, 31
	v_dual_mov_b32 v2, 0 :: v_dual_mov_b32 v1, 0
	s_lshl_b64 s[4:5], s[8:9], 2
	s_delay_alu instid0(SALU_CYCLE_1)
	s_add_u32 s2, s2, s4
	s_addc_u32 s3, s3, s5
	s_load_b64 s[12:13], s[2:3], 0x0
	s_load_b64 s[2:3], s[0:1], 0x40
	s_waitcnt lgkmcnt(0)
	s_cmp_ge_i32 s12, s13
	s_cbranch_scc1 .LBB69_18
; %bb.11:
	s_clause 0x1
	s_load_b128 s[4:7], s[0:1], 0x18
	s_load_b64 s[0:1], s[0:1], 0x30
	v_mad_u64_u32 v[1:2], null, s12, 26, v[0:1]
	v_mul_u32_u24_e32 v3, 0x9d9, v0
	v_mov_b32_e32 v2, 0
	s_mul_i32 s9, s10, 26
	v_mov_b32_e32 v4, 0
	s_sub_i32 s12, s12, s10
	v_lshrrev_b32_e32 v13, 16, v3
	v_subrev_nc_u32_e32 v3, s9, v1
	v_mov_b32_e32 v1, v2
	s_sub_i32 s9, s13, s10
	s_set_inst_prefetch_distance 0x1
	s_branch .LBB69_13
	.p2align	6
.LBB69_12:                              ;   in Loop: Header=BB69_13 Depth=1
	s_or_b32 exec_lo, exec_lo, s13
	v_add_nc_u32_e32 v3, 52, v3
	s_add_i32 s12, s12, 2
	s_delay_alu instid0(SALU_CYCLE_1)
	s_cmp_ge_i32 s12, s9
	s_cbranch_scc1 .LBB69_18
.LBB69_13:                              ; =>This Inner Loop Header: Depth=1
	v_add_nc_u32_e32 v5, s12, v13
	s_mov_b32 s13, exec_lo
	s_delay_alu instid0(VALU_DEP_1)
	v_cmpx_gt_i32_e64 s9, v5
	s_cbranch_execz .LBB69_12
; %bb.14:                               ;   in Loop: Header=BB69_13 Depth=1
	v_ashrrev_i32_e32 v6, 31, v5
	v_lshlrev_b64 v[14:15], 3, v[3:4]
	s_delay_alu instid0(VALU_DEP_2) | instskip(SKIP_1) | instid1(VALU_DEP_1)
	v_lshlrev_b64 v[5:6], 2, v[5:6]
	s_waitcnt lgkmcnt(0)
	v_add_co_u32 v5, vcc_lo, s4, v5
	s_delay_alu instid0(VALU_DEP_2) | instskip(NEXT) | instid1(VALU_DEP_4)
	v_add_co_ci_u32_e32 v6, vcc_lo, s5, v6, vcc_lo
	v_add_co_u32 v14, vcc_lo, s6, v14
	v_add_co_ci_u32_e32 v15, vcc_lo, s7, v15, vcc_lo
	global_load_b32 v5, v[5:6], off
	s_waitcnt vmcnt(0)
	v_subrev_nc_u32_e32 v5, s10, v5
	s_delay_alu instid0(VALU_DEP_1) | instskip(NEXT) | instid1(VALU_DEP_1)
	v_lshl_or_b32 v5, v5, 1, v12
	v_ashrrev_i32_e32 v6, 31, v5
	s_delay_alu instid0(VALU_DEP_1) | instskip(NEXT) | instid1(VALU_DEP_1)
	v_lshlrev_b64 v[5:6], 3, v[5:6]
	v_add_co_u32 v5, vcc_lo, s0, v5
	s_delay_alu instid0(VALU_DEP_2)
	v_add_co_ci_u32_e32 v6, vcc_lo, s1, v6, vcc_lo
	global_load_b64 v[14:15], v[14:15], off
	global_load_b64 v[5:6], v[5:6], off
	s_waitcnt vmcnt(0)
	v_fmac_f32_e32 v1, v14, v5
	v_fmac_f32_e32 v2, v15, v5
	s_delay_alu instid0(VALU_DEP_2) | instskip(NEXT) | instid1(VALU_DEP_2)
	v_fma_f32 v1, -v15, v6, v1
	v_fmac_f32_e32 v2, v14, v6
	s_branch .LBB69_12
.LBB69_15:
	v_dual_mov_b32 v1, s4 :: v_dual_mov_b32 v2, s5
	flat_load_b32 v9, v[1:2]
	v_cndmask_b32_e64 v1, 0, 1, s6
	v_mov_b32_e32 v10, s5
	s_and_not1_b32 vcc_lo, exec_lo, s6
	s_cbranch_vccnz .LBB69_2
.LBB69_16:
	v_dual_mov_b32 v2, s4 :: v_dual_mov_b32 v3, s5
	flat_load_b32 v10, v[2:3] offset:4
	v_cmp_ne_u32_e32 vcc_lo, 1, v1
	v_mov_b32_e32 v7, s2
	s_cbranch_vccnz .LBB69_3
.LBB69_17:
	v_dual_mov_b32 v2, s2 :: v_dual_mov_b32 v3, s3
	flat_load_b32 v7, v[2:3]
	v_cmp_ne_u32_e32 vcc_lo, 1, v1
	v_mov_b32_e32 v8, s3
	s_cbranch_vccz .LBB69_4
	s_branch .LBB69_5
.LBB69_18:
	s_set_inst_prefetch_distance 0x2
	v_lshlrev_b32_e32 v5, 3, v0
	s_waitcnt lgkmcnt(0)
	s_mov_b32 s0, exec_lo
	ds_store_b64 v5, v[1:2]
	s_waitcnt lgkmcnt(0)
	s_barrier
	buffer_gl0_inv
	v_cmpx_gt_u32_e32 26, v0
	s_cbranch_execz .LBB69_20
; %bb.19:
	ds_load_2addr_b64 v[12:15], v5 offset1:26
	s_waitcnt lgkmcnt(0)
	v_dual_add_f32 v3, v14, v12 :: v_dual_add_f32 v4, v15, v13
	ds_store_b64 v5, v[3:4]
.LBB69_20:
	s_or_b32 exec_lo, exec_lo, s0
	s_delay_alu instid0(SALU_CYCLE_1)
	s_and_b32 vcc_lo, exec_lo, s11
	s_waitcnt lgkmcnt(0)
	s_barrier
	buffer_gl0_inv
	s_cbranch_vccz .LBB69_26
; %bb.21:
	s_mov_b32 s0, exec_lo
	v_cmpx_eq_u32_e32 0, v11
	s_cbranch_execz .LBB69_23
; %bb.22:
	ds_load_2addr_b64 v[11:14], v5 offset1:1
	s_waitcnt lgkmcnt(0)
	v_dual_add_f32 v3, v13, v11 :: v_dual_add_f32 v4, v14, v12
	ds_store_b64 v5, v[3:4]
.LBB69_23:
	s_or_b32 exec_lo, exec_lo, s0
	v_dual_mov_b32 v4, v2 :: v_dual_mov_b32 v3, v1
	s_mov_b32 s0, exec_lo
	s_waitcnt lgkmcnt(0)
	s_barrier
	buffer_gl0_inv
	v_cmpx_gt_u32_e32 13, v0
	s_cbranch_execz .LBB69_25
; %bb.24:
	v_lshl_add_u32 v3, v0, 3, v5
	ds_load_b64 v[3:4], v3
.LBB69_25:
	s_or_b32 exec_lo, exec_lo, s0
	s_branch .LBB69_32
.LBB69_26:
                                        ; implicit-def: $vgpr4
	s_cbranch_execz .LBB69_32
; %bb.27:
	s_mov_b32 s0, exec_lo
	v_cmpx_lt_u32_e32 12, v0
	s_xor_b32 s0, exec_lo, s0
	s_cbranch_execz .LBB69_29
; %bb.28:
	s_waitcnt lgkmcnt(0)
	buffer_gl0_inv
                                        ; implicit-def: $vgpr5
.LBB69_29:
	s_and_not1_saveexec_b32 s0, s0
	s_cbranch_execz .LBB69_31
; %bb.30:
	s_waitcnt lgkmcnt(0)
	ds_load_2addr_b64 v[1:4], v5 offset1:13
	s_waitcnt lgkmcnt(0)
	v_dual_add_f32 v1, v3, v1 :: v_dual_add_f32 v2, v4, v2
	ds_store_b64 v5, v[1:2]
	s_waitcnt lgkmcnt(0)
	buffer_gl0_inv
	ds_load_b64 v[1:2], v5
.LBB69_31:
	s_or_b32 exec_lo, exec_lo, s0
	s_waitcnt lgkmcnt(0)
	v_dual_mov_b32 v3, v1 :: v_dual_mov_b32 v4, v2
.LBB69_32:
	v_cmp_gt_u32_e32 vcc_lo, 13, v0
	s_and_b32 exec_lo, exec_lo, vcc_lo
	s_cbranch_execz .LBB69_37
; %bb.33:
	s_waitcnt lgkmcnt(0)
	v_mul_f32_e64 v1, v4, -v10
	v_mul_f32_e32 v2, v4, v9
	v_cmp_eq_f32_e32 vcc_lo, 0, v7
	v_cmp_eq_f32_e64 s0, 0, v8
	s_delay_alu instid0(VALU_DEP_4) | instskip(NEXT) | instid1(VALU_DEP_4)
	v_fmac_f32_e32 v1, v9, v3
	v_fmac_f32_e32 v2, v10, v3
	s_delay_alu instid0(VALU_DEP_3) | instskip(NEXT) | instid1(SALU_CYCLE_1)
	s_and_b32 s0, vcc_lo, s0
	s_and_saveexec_b32 s1, s0
	s_delay_alu instid0(SALU_CYCLE_1)
	s_xor_b32 s0, exec_lo, s1
	s_cbranch_execz .LBB69_35
; %bb.34:
	v_mad_u64_u32 v[3:4], null, s8, 13, v[0:1]
	v_mov_b32_e32 v4, 0
                                        ; implicit-def: $vgpr0
                                        ; implicit-def: $vgpr7
                                        ; implicit-def: $vgpr8
	s_delay_alu instid0(VALU_DEP_1) | instskip(NEXT) | instid1(VALU_DEP_1)
	v_lshlrev_b64 v[3:4], 3, v[3:4]
	v_add_co_u32 v3, vcc_lo, s2, v3
	s_delay_alu instid0(VALU_DEP_2)
	v_add_co_ci_u32_e32 v4, vcc_lo, s3, v4, vcc_lo
	global_store_b64 v[3:4], v[1:2], off
                                        ; implicit-def: $vgpr1
.LBB69_35:
	s_and_not1_saveexec_b32 s0, s0
	s_cbranch_execz .LBB69_37
; %bb.36:
	v_mad_u64_u32 v[3:4], null, s8, 13, v[0:1]
	v_mov_b32_e32 v4, 0
	s_delay_alu instid0(VALU_DEP_1) | instskip(NEXT) | instid1(VALU_DEP_1)
	v_lshlrev_b64 v[3:4], 3, v[3:4]
	v_add_co_u32 v3, vcc_lo, s2, v3
	s_delay_alu instid0(VALU_DEP_2) | instskip(SKIP_4) | instid1(VALU_DEP_2)
	v_add_co_ci_u32_e32 v4, vcc_lo, s3, v4, vcc_lo
	global_load_b64 v[5:6], v[3:4], off
	s_waitcnt vmcnt(0)
	v_fmac_f32_e32 v1, v7, v5
	v_fmac_f32_e32 v2, v8, v5
	v_fma_f32 v1, -v8, v6, v1
	s_delay_alu instid0(VALU_DEP_2)
	v_fmac_f32_e32 v2, v7, v6
	global_store_b64 v[3:4], v[1:2], off
.LBB69_37:
	s_nop 0
	s_sendmsg sendmsg(MSG_DEALLOC_VGPRS)
	s_endpgm
	.section	.rodata,"a",@progbits
	.p2align	6, 0x0
	.amdhsa_kernel _ZN9rocsparseL22gebsrmvn_mxn_16_kernelILj52ELj13ELj2E21rocsparse_complex_numIfEEEvi20rocsparse_direction_NS_24const_host_device_scalarIT2_EEPKiS8_PKS5_iiSA_S6_PS5_21rocsparse_index_base_b
		.amdhsa_group_segment_fixed_size 416
		.amdhsa_private_segment_fixed_size 0
		.amdhsa_kernarg_size 80
		.amdhsa_user_sgpr_count 15
		.amdhsa_user_sgpr_dispatch_ptr 0
		.amdhsa_user_sgpr_queue_ptr 0
		.amdhsa_user_sgpr_kernarg_segment_ptr 1
		.amdhsa_user_sgpr_dispatch_id 0
		.amdhsa_user_sgpr_private_segment_size 0
		.amdhsa_wavefront_size32 1
		.amdhsa_uses_dynamic_stack 0
		.amdhsa_enable_private_segment 0
		.amdhsa_system_sgpr_workgroup_id_x 1
		.amdhsa_system_sgpr_workgroup_id_y 0
		.amdhsa_system_sgpr_workgroup_id_z 0
		.amdhsa_system_sgpr_workgroup_info 0
		.amdhsa_system_vgpr_workitem_id 0
		.amdhsa_next_free_vgpr 16
		.amdhsa_next_free_sgpr 16
		.amdhsa_reserve_vcc 1
		.amdhsa_float_round_mode_32 0
		.amdhsa_float_round_mode_16_64 0
		.amdhsa_float_denorm_mode_32 3
		.amdhsa_float_denorm_mode_16_64 3
		.amdhsa_dx10_clamp 1
		.amdhsa_ieee_mode 1
		.amdhsa_fp16_overflow 0
		.amdhsa_workgroup_processor_mode 1
		.amdhsa_memory_ordered 1
		.amdhsa_forward_progress 0
		.amdhsa_shared_vgpr_count 0
		.amdhsa_exception_fp_ieee_invalid_op 0
		.amdhsa_exception_fp_denorm_src 0
		.amdhsa_exception_fp_ieee_div_zero 0
		.amdhsa_exception_fp_ieee_overflow 0
		.amdhsa_exception_fp_ieee_underflow 0
		.amdhsa_exception_fp_ieee_inexact 0
		.amdhsa_exception_int_div_zero 0
	.end_amdhsa_kernel
	.section	.text._ZN9rocsparseL22gebsrmvn_mxn_16_kernelILj52ELj13ELj2E21rocsparse_complex_numIfEEEvi20rocsparse_direction_NS_24const_host_device_scalarIT2_EEPKiS8_PKS5_iiSA_S6_PS5_21rocsparse_index_base_b,"axG",@progbits,_ZN9rocsparseL22gebsrmvn_mxn_16_kernelILj52ELj13ELj2E21rocsparse_complex_numIfEEEvi20rocsparse_direction_NS_24const_host_device_scalarIT2_EEPKiS8_PKS5_iiSA_S6_PS5_21rocsparse_index_base_b,comdat
.Lfunc_end69:
	.size	_ZN9rocsparseL22gebsrmvn_mxn_16_kernelILj52ELj13ELj2E21rocsparse_complex_numIfEEEvi20rocsparse_direction_NS_24const_host_device_scalarIT2_EEPKiS8_PKS5_iiSA_S6_PS5_21rocsparse_index_base_b, .Lfunc_end69-_ZN9rocsparseL22gebsrmvn_mxn_16_kernelILj52ELj13ELj2E21rocsparse_complex_numIfEEEvi20rocsparse_direction_NS_24const_host_device_scalarIT2_EEPKiS8_PKS5_iiSA_S6_PS5_21rocsparse_index_base_b
                                        ; -- End function
	.section	.AMDGPU.csdata,"",@progbits
; Kernel info:
; codeLenInByte = 1256
; NumSgprs: 18
; NumVgprs: 16
; ScratchSize: 0
; MemoryBound: 0
; FloatMode: 240
; IeeeMode: 1
; LDSByteSize: 416 bytes/workgroup (compile time only)
; SGPRBlocks: 2
; VGPRBlocks: 1
; NumSGPRsForWavesPerEU: 18
; NumVGPRsForWavesPerEU: 16
; Occupancy: 16
; WaveLimiterHint : 1
; COMPUTE_PGM_RSRC2:SCRATCH_EN: 0
; COMPUTE_PGM_RSRC2:USER_SGPR: 15
; COMPUTE_PGM_RSRC2:TRAP_HANDLER: 0
; COMPUTE_PGM_RSRC2:TGID_X_EN: 1
; COMPUTE_PGM_RSRC2:TGID_Y_EN: 0
; COMPUTE_PGM_RSRC2:TGID_Z_EN: 0
; COMPUTE_PGM_RSRC2:TIDIG_COMP_CNT: 0
	.section	.text._ZN9rocsparseL22gebsrmvn_mxn_16_kernelILj39ELj13ELj3E21rocsparse_complex_numIfEEEvi20rocsparse_direction_NS_24const_host_device_scalarIT2_EEPKiS8_PKS5_iiSA_S6_PS5_21rocsparse_index_base_b,"axG",@progbits,_ZN9rocsparseL22gebsrmvn_mxn_16_kernelILj39ELj13ELj3E21rocsparse_complex_numIfEEEvi20rocsparse_direction_NS_24const_host_device_scalarIT2_EEPKiS8_PKS5_iiSA_S6_PS5_21rocsparse_index_base_b,comdat
	.globl	_ZN9rocsparseL22gebsrmvn_mxn_16_kernelILj39ELj13ELj3E21rocsparse_complex_numIfEEEvi20rocsparse_direction_NS_24const_host_device_scalarIT2_EEPKiS8_PKS5_iiSA_S6_PS5_21rocsparse_index_base_b ; -- Begin function _ZN9rocsparseL22gebsrmvn_mxn_16_kernelILj39ELj13ELj3E21rocsparse_complex_numIfEEEvi20rocsparse_direction_NS_24const_host_device_scalarIT2_EEPKiS8_PKS5_iiSA_S6_PS5_21rocsparse_index_base_b
	.p2align	8
	.type	_ZN9rocsparseL22gebsrmvn_mxn_16_kernelILj39ELj13ELj3E21rocsparse_complex_numIfEEEvi20rocsparse_direction_NS_24const_host_device_scalarIT2_EEPKiS8_PKS5_iiSA_S6_PS5_21rocsparse_index_base_b,@function
_ZN9rocsparseL22gebsrmvn_mxn_16_kernelILj39ELj13ELj3E21rocsparse_complex_numIfEEEvi20rocsparse_direction_NS_24const_host_device_scalarIT2_EEPKiS8_PKS5_iiSA_S6_PS5_21rocsparse_index_base_b: ; @_ZN9rocsparseL22gebsrmvn_mxn_16_kernelILj39ELj13ELj3E21rocsparse_complex_numIfEEEvi20rocsparse_direction_NS_24const_host_device_scalarIT2_EEPKiS8_PKS5_iiSA_S6_PS5_21rocsparse_index_base_b
; %bb.0:
	s_clause 0x2
	s_load_b64 s[10:11], s[0:1], 0x48
	s_load_b64 s[4:5], s[0:1], 0x8
	;; [unrolled: 1-line block ×3, first 2 shown]
	s_mov_b32 s8, s15
	s_waitcnt lgkmcnt(0)
	s_bitcmp1_b32 s11, 0
	v_mov_b32_e32 v10, s4
	s_cselect_b32 s6, -1, 0
	s_delay_alu instid0(SALU_CYCLE_1)
	s_and_b32 vcc_lo, exec_lo, s6
	s_xor_b32 s6, s6, -1
	s_cbranch_vccz .LBB70_15
; %bb.1:
	v_cndmask_b32_e64 v1, 0, 1, s6
	v_mov_b32_e32 v11, s5
	s_and_not1_b32 vcc_lo, exec_lo, s6
	s_cbranch_vccz .LBB70_16
.LBB70_2:
	s_delay_alu instid0(VALU_DEP_2)
	v_cmp_ne_u32_e32 vcc_lo, 1, v1
	v_mov_b32_e32 v8, s2
	s_cbranch_vccz .LBB70_17
.LBB70_3:
	v_cmp_ne_u32_e32 vcc_lo, 1, v1
	v_mov_b32_e32 v9, s3
	s_cbranch_vccnz .LBB70_5
.LBB70_4:
	v_dual_mov_b32 v1, s2 :: v_dual_mov_b32 v2, s3
	flat_load_b32 v9, v[1:2] offset:4
.LBB70_5:
	s_waitcnt vmcnt(0) lgkmcnt(0)
	v_cmp_eq_f32_e32 vcc_lo, 0, v10
	v_cmp_eq_f32_e64 s2, 0, v11
	s_delay_alu instid0(VALU_DEP_1)
	s_and_b32 s4, vcc_lo, s2
	s_mov_b32 s2, -1
	s_and_saveexec_b32 s3, s4
; %bb.6:
	v_cmp_neq_f32_e32 vcc_lo, 1.0, v8
	v_cmp_neq_f32_e64 s2, 0, v9
	s_delay_alu instid0(VALU_DEP_1) | instskip(NEXT) | instid1(SALU_CYCLE_1)
	s_or_b32 s2, vcc_lo, s2
	s_or_not1_b32 s2, s2, exec_lo
; %bb.7:
	s_or_b32 exec_lo, exec_lo, s3
	s_and_saveexec_b32 s3, s2
	s_cbranch_execz .LBB70_39
; %bb.8:
	v_mul_u32_u24_e32 v1, 0x5556, v0
	s_clause 0x1
	s_load_b32 s4, s[0:1], 0x4
	s_load_b64 s[2:3], s[0:1], 0x10
	s_delay_alu instid0(VALU_DEP_1) | instskip(NEXT) | instid1(VALU_DEP_1)
	v_lshrrev_b32_e32 v1, 16, v1
	v_mul_lo_u16 v1, v1, 3
	s_delay_alu instid0(VALU_DEP_1) | instskip(NEXT) | instid1(VALU_DEP_1)
	v_sub_nc_u16 v1, v0, v1
	v_and_b32_e32 v12, 0xffff, v1
	s_waitcnt lgkmcnt(0)
	s_cmp_lg_u32 s4, 1
	v_and_b32_e32 v4, 0xffff, v0
	s_cselect_b32 s11, -1, 0
	v_mov_b32_e32 v3, v12
	s_and_b32 vcc_lo, exec_lo, s11
	s_cbranch_vccnz .LBB70_10
; %bb.9:
	v_mul_u32_u24_e32 v1, 0x13b2, v4
	s_delay_alu instid0(VALU_DEP_1) | instskip(NEXT) | instid1(VALU_DEP_1)
	v_lshrrev_b32_e32 v1, 16, v1
	v_mul_lo_u16 v2, 0x56, v1
	s_delay_alu instid0(VALU_DEP_1) | instskip(NEXT) | instid1(VALU_DEP_1)
	v_lshrrev_b16 v2, 8, v2
	v_mul_lo_u16 v2, v2, 3
	s_delay_alu instid0(VALU_DEP_1) | instskip(NEXT) | instid1(VALU_DEP_1)
	v_sub_nc_u16 v1, v1, v2
	v_and_b32_e32 v3, 0xff, v1
.LBB70_10:
	s_ashr_i32 s9, s8, 31
	v_dual_mov_b32 v2, 0 :: v_dual_mov_b32 v1, 0
	s_lshl_b64 s[4:5], s[8:9], 2
	s_delay_alu instid0(SALU_CYCLE_1)
	s_add_u32 s2, s2, s4
	s_addc_u32 s3, s3, s5
	s_load_b64 s[12:13], s[2:3], 0x0
	s_load_b64 s[2:3], s[0:1], 0x40
	s_waitcnt lgkmcnt(0)
	s_cmp_ge_i32 s12, s13
	s_cbranch_scc1 .LBB70_18
; %bb.11:
	s_clause 0x1
	s_load_b128 s[4:7], s[0:1], 0x18
	s_load_b64 s[0:1], s[0:1], 0x30
	v_mad_u64_u32 v[1:2], null, s12, 39, v[0:1]
	v_mul_u32_u24_e32 v4, 0x691, v4
	v_dual_mov_b32 v2, 0 :: v_dual_mov_b32 v5, 0
	s_mul_i32 s9, s10, 39
	s_sub_i32 s12, s12, s10
	s_delay_alu instid0(VALU_DEP_2) | instskip(NEXT) | instid1(VALU_DEP_4)
	v_lshrrev_b32_e32 v13, 16, v4
	v_subrev_nc_u32_e32 v4, s9, v1
	v_mov_b32_e32 v1, v2
	s_sub_i32 s9, s13, s10
	s_set_inst_prefetch_distance 0x1
	s_branch .LBB70_13
	.p2align	6
.LBB70_12:                              ;   in Loop: Header=BB70_13 Depth=1
	s_or_b32 exec_lo, exec_lo, s13
	v_add_nc_u32_e32 v4, 39, v4
	s_add_i32 s12, s12, 1
	s_delay_alu instid0(SALU_CYCLE_1)
	s_cmp_ge_i32 s12, s9
	s_cbranch_scc1 .LBB70_18
.LBB70_13:                              ; =>This Inner Loop Header: Depth=1
	v_add_nc_u32_e32 v6, s12, v13
	s_mov_b32 s13, exec_lo
	s_delay_alu instid0(VALU_DEP_1)
	v_cmpx_gt_i32_e64 s9, v6
	s_cbranch_execz .LBB70_12
; %bb.14:                               ;   in Loop: Header=BB70_13 Depth=1
	v_ashrrev_i32_e32 v7, 31, v6
	s_delay_alu instid0(VALU_DEP_1) | instskip(SKIP_1) | instid1(VALU_DEP_1)
	v_lshlrev_b64 v[6:7], 2, v[6:7]
	s_waitcnt lgkmcnt(0)
	v_add_co_u32 v6, vcc_lo, s4, v6
	s_delay_alu instid0(VALU_DEP_2) | instskip(SKIP_3) | instid1(VALU_DEP_1)
	v_add_co_ci_u32_e32 v7, vcc_lo, s5, v7, vcc_lo
	global_load_b32 v6, v[6:7], off
	s_waitcnt vmcnt(0)
	v_subrev_nc_u32_e32 v14, s10, v6
	v_mad_u64_u32 v[6:7], null, v14, 3, v[3:4]
	v_lshlrev_b64 v[14:15], 3, v[4:5]
	s_delay_alu instid0(VALU_DEP_1) | instskip(NEXT) | instid1(VALU_DEP_3)
	v_add_co_u32 v14, vcc_lo, s6, v14
	v_ashrrev_i32_e32 v7, 31, v6
	s_delay_alu instid0(VALU_DEP_3) | instskip(NEXT) | instid1(VALU_DEP_2)
	v_add_co_ci_u32_e32 v15, vcc_lo, s7, v15, vcc_lo
	v_lshlrev_b64 v[6:7], 3, v[6:7]
	s_delay_alu instid0(VALU_DEP_1) | instskip(NEXT) | instid1(VALU_DEP_2)
	v_add_co_u32 v6, vcc_lo, s0, v6
	v_add_co_ci_u32_e32 v7, vcc_lo, s1, v7, vcc_lo
	global_load_b64 v[14:15], v[14:15], off
	global_load_b64 v[6:7], v[6:7], off
	s_waitcnt vmcnt(0)
	v_fmac_f32_e32 v1, v14, v6
	v_fmac_f32_e32 v2, v15, v6
	s_delay_alu instid0(VALU_DEP_2) | instskip(NEXT) | instid1(VALU_DEP_2)
	v_fma_f32 v1, -v15, v7, v1
	v_fmac_f32_e32 v2, v14, v7
	s_branch .LBB70_12
.LBB70_15:
	v_dual_mov_b32 v1, s4 :: v_dual_mov_b32 v2, s5
	flat_load_b32 v10, v[1:2]
	v_cndmask_b32_e64 v1, 0, 1, s6
	v_mov_b32_e32 v11, s5
	s_and_not1_b32 vcc_lo, exec_lo, s6
	s_cbranch_vccnz .LBB70_2
.LBB70_16:
	v_dual_mov_b32 v2, s4 :: v_dual_mov_b32 v3, s5
	flat_load_b32 v11, v[2:3] offset:4
	v_cmp_ne_u32_e32 vcc_lo, 1, v1
	v_mov_b32_e32 v8, s2
	s_cbranch_vccnz .LBB70_3
.LBB70_17:
	v_dual_mov_b32 v2, s2 :: v_dual_mov_b32 v3, s3
	flat_load_b32 v8, v[2:3]
	v_cmp_ne_u32_e32 vcc_lo, 1, v1
	v_mov_b32_e32 v9, s3
	s_cbranch_vccz .LBB70_4
	s_branch .LBB70_5
.LBB70_18:
	s_set_inst_prefetch_distance 0x2
	v_lshlrev_b32_e32 v5, 3, v0
	s_and_b32 vcc_lo, exec_lo, s11
	ds_store_b64 v5, v[1:2]
	s_waitcnt lgkmcnt(0)
	s_barrier
	buffer_gl0_inv
	s_cbranch_vccz .LBB70_26
; %bb.19:
	v_cmp_eq_u16_e32 vcc_lo, 0, v12
	s_and_saveexec_b32 s0, vcc_lo
	s_cbranch_execz .LBB70_21
; %bb.20:
	ds_load_2addr_b64 v[12:15], v5 offset1:2
	s_waitcnt lgkmcnt(0)
	v_dual_add_f32 v3, v14, v12 :: v_dual_add_f32 v4, v15, v13
	ds_store_b64 v5, v[3:4]
.LBB70_21:
	s_or_b32 exec_lo, exec_lo, s0
	s_waitcnt lgkmcnt(0)
	s_barrier
	buffer_gl0_inv
	s_and_saveexec_b32 s0, vcc_lo
	s_cbranch_execz .LBB70_23
; %bb.22:
	ds_load_2addr_b64 v[12:15], v5 offset1:1
	s_waitcnt lgkmcnt(0)
	v_dual_add_f32 v3, v14, v12 :: v_dual_add_f32 v4, v15, v13
	ds_store_b64 v5, v[3:4]
.LBB70_23:
	s_or_b32 exec_lo, exec_lo, s0
	v_dual_mov_b32 v4, v2 :: v_dual_mov_b32 v3, v1
	s_mov_b32 s0, exec_lo
	s_waitcnt lgkmcnt(0)
	s_barrier
	buffer_gl0_inv
	v_cmpx_gt_u32_e32 13, v0
	s_cbranch_execz .LBB70_25
; %bb.24:
	v_lshl_add_u32 v3, v0, 4, v5
	ds_load_b64 v[3:4], v3
.LBB70_25:
	s_or_b32 exec_lo, exec_lo, s0
	v_cmp_gt_u32_e64 s0, 13, v0
	s_branch .LBB70_34
.LBB70_26:
                                        ; implicit-def: $vgpr4
	v_cmp_gt_u32_e64 s0, 13, v0
	s_cbranch_execz .LBB70_34
; %bb.27:
	v_cmp_lt_u32_e32 vcc_lo, 12, v0
	s_delay_alu instid0(VALU_DEP_2)
	s_and_saveexec_b32 s1, s0
	s_cbranch_execz .LBB70_29
; %bb.28:
	ds_load_2addr_b64 v[12:15], v5 offset1:26
	s_waitcnt lgkmcnt(0)
	v_dual_add_f32 v3, v14, v12 :: v_dual_add_f32 v4, v15, v13
	ds_store_b64 v5, v[3:4]
.LBB70_29:
	s_or_b32 exec_lo, exec_lo, s1
	s_waitcnt lgkmcnt(0)
	s_barrier
	buffer_gl0_inv
	s_and_saveexec_b32 s0, vcc_lo
	s_delay_alu instid0(SALU_CYCLE_1)
	s_xor_b32 s0, exec_lo, s0
	s_cbranch_execz .LBB70_31
; %bb.30:
	buffer_gl0_inv
                                        ; implicit-def: $vgpr5
.LBB70_31:
	s_and_not1_saveexec_b32 s0, s0
	s_cbranch_execz .LBB70_33
; %bb.32:
	ds_load_2addr_b64 v[1:4], v5 offset1:13
	s_waitcnt lgkmcnt(0)
	v_dual_add_f32 v1, v3, v1 :: v_dual_add_f32 v2, v4, v2
	ds_store_b64 v5, v[1:2]
	s_waitcnt lgkmcnt(0)
	buffer_gl0_inv
	ds_load_b64 v[1:2], v5
.LBB70_33:
	s_or_b32 exec_lo, exec_lo, s0
	s_waitcnt lgkmcnt(0)
	v_dual_mov_b32 v4, v2 :: v_dual_mov_b32 v3, v1
.LBB70_34:
	v_cmp_gt_u32_e32 vcc_lo, 13, v0
	s_and_b32 exec_lo, exec_lo, vcc_lo
	s_cbranch_execz .LBB70_39
; %bb.35:
	s_waitcnt lgkmcnt(0)
	v_mul_f32_e64 v1, v4, -v11
	v_mul_f32_e32 v2, v4, v10
	v_cmp_eq_f32_e32 vcc_lo, 0, v8
	v_cmp_eq_f32_e64 s0, 0, v9
	s_delay_alu instid0(VALU_DEP_4) | instskip(NEXT) | instid1(VALU_DEP_4)
	v_fmac_f32_e32 v1, v10, v3
	v_fmac_f32_e32 v2, v11, v3
	s_delay_alu instid0(VALU_DEP_3) | instskip(NEXT) | instid1(SALU_CYCLE_1)
	s_and_b32 s0, vcc_lo, s0
	s_and_saveexec_b32 s1, s0
	s_delay_alu instid0(SALU_CYCLE_1)
	s_xor_b32 s0, exec_lo, s1
	s_cbranch_execz .LBB70_37
; %bb.36:
	v_mad_u64_u32 v[3:4], null, s8, 13, v[0:1]
	v_mov_b32_e32 v4, 0
                                        ; implicit-def: $vgpr0
                                        ; implicit-def: $vgpr8
                                        ; implicit-def: $vgpr9
	s_delay_alu instid0(VALU_DEP_1) | instskip(NEXT) | instid1(VALU_DEP_1)
	v_lshlrev_b64 v[3:4], 3, v[3:4]
	v_add_co_u32 v3, vcc_lo, s2, v3
	s_delay_alu instid0(VALU_DEP_2)
	v_add_co_ci_u32_e32 v4, vcc_lo, s3, v4, vcc_lo
	global_store_b64 v[3:4], v[1:2], off
                                        ; implicit-def: $vgpr1
.LBB70_37:
	s_and_not1_saveexec_b32 s0, s0
	s_cbranch_execz .LBB70_39
; %bb.38:
	v_mad_u64_u32 v[3:4], null, s8, 13, v[0:1]
	v_mov_b32_e32 v4, 0
	s_delay_alu instid0(VALU_DEP_1) | instskip(NEXT) | instid1(VALU_DEP_1)
	v_lshlrev_b64 v[3:4], 3, v[3:4]
	v_add_co_u32 v3, vcc_lo, s2, v3
	s_delay_alu instid0(VALU_DEP_2) | instskip(SKIP_4) | instid1(VALU_DEP_2)
	v_add_co_ci_u32_e32 v4, vcc_lo, s3, v4, vcc_lo
	global_load_b64 v[5:6], v[3:4], off
	s_waitcnt vmcnt(0)
	v_fmac_f32_e32 v1, v8, v5
	v_fmac_f32_e32 v2, v9, v5
	v_fma_f32 v1, -v9, v6, v1
	s_delay_alu instid0(VALU_DEP_2)
	v_fmac_f32_e32 v2, v8, v6
	global_store_b64 v[3:4], v[1:2], off
.LBB70_39:
	s_nop 0
	s_sendmsg sendmsg(MSG_DEALLOC_VGPRS)
	s_endpgm
	.section	.rodata,"a",@progbits
	.p2align	6, 0x0
	.amdhsa_kernel _ZN9rocsparseL22gebsrmvn_mxn_16_kernelILj39ELj13ELj3E21rocsparse_complex_numIfEEEvi20rocsparse_direction_NS_24const_host_device_scalarIT2_EEPKiS8_PKS5_iiSA_S6_PS5_21rocsparse_index_base_b
		.amdhsa_group_segment_fixed_size 312
		.amdhsa_private_segment_fixed_size 0
		.amdhsa_kernarg_size 80
		.amdhsa_user_sgpr_count 15
		.amdhsa_user_sgpr_dispatch_ptr 0
		.amdhsa_user_sgpr_queue_ptr 0
		.amdhsa_user_sgpr_kernarg_segment_ptr 1
		.amdhsa_user_sgpr_dispatch_id 0
		.amdhsa_user_sgpr_private_segment_size 0
		.amdhsa_wavefront_size32 1
		.amdhsa_uses_dynamic_stack 0
		.amdhsa_enable_private_segment 0
		.amdhsa_system_sgpr_workgroup_id_x 1
		.amdhsa_system_sgpr_workgroup_id_y 0
		.amdhsa_system_sgpr_workgroup_id_z 0
		.amdhsa_system_sgpr_workgroup_info 0
		.amdhsa_system_vgpr_workitem_id 0
		.amdhsa_next_free_vgpr 16
		.amdhsa_next_free_sgpr 16
		.amdhsa_reserve_vcc 1
		.amdhsa_float_round_mode_32 0
		.amdhsa_float_round_mode_16_64 0
		.amdhsa_float_denorm_mode_32 3
		.amdhsa_float_denorm_mode_16_64 3
		.amdhsa_dx10_clamp 1
		.amdhsa_ieee_mode 1
		.amdhsa_fp16_overflow 0
		.amdhsa_workgroup_processor_mode 1
		.amdhsa_memory_ordered 1
		.amdhsa_forward_progress 0
		.amdhsa_shared_vgpr_count 0
		.amdhsa_exception_fp_ieee_invalid_op 0
		.amdhsa_exception_fp_denorm_src 0
		.amdhsa_exception_fp_ieee_div_zero 0
		.amdhsa_exception_fp_ieee_overflow 0
		.amdhsa_exception_fp_ieee_underflow 0
		.amdhsa_exception_fp_ieee_inexact 0
		.amdhsa_exception_int_div_zero 0
	.end_amdhsa_kernel
	.section	.text._ZN9rocsparseL22gebsrmvn_mxn_16_kernelILj39ELj13ELj3E21rocsparse_complex_numIfEEEvi20rocsparse_direction_NS_24const_host_device_scalarIT2_EEPKiS8_PKS5_iiSA_S6_PS5_21rocsparse_index_base_b,"axG",@progbits,_ZN9rocsparseL22gebsrmvn_mxn_16_kernelILj39ELj13ELj3E21rocsparse_complex_numIfEEEvi20rocsparse_direction_NS_24const_host_device_scalarIT2_EEPKiS8_PKS5_iiSA_S6_PS5_21rocsparse_index_base_b,comdat
.Lfunc_end70:
	.size	_ZN9rocsparseL22gebsrmvn_mxn_16_kernelILj39ELj13ELj3E21rocsparse_complex_numIfEEEvi20rocsparse_direction_NS_24const_host_device_scalarIT2_EEPKiS8_PKS5_iiSA_S6_PS5_21rocsparse_index_base_b, .Lfunc_end70-_ZN9rocsparseL22gebsrmvn_mxn_16_kernelILj39ELj13ELj3E21rocsparse_complex_numIfEEEvi20rocsparse_direction_NS_24const_host_device_scalarIT2_EEPKiS8_PKS5_iiSA_S6_PS5_21rocsparse_index_base_b
                                        ; -- End function
	.section	.AMDGPU.csdata,"",@progbits
; Kernel info:
; codeLenInByte = 1412
; NumSgprs: 18
; NumVgprs: 16
; ScratchSize: 0
; MemoryBound: 0
; FloatMode: 240
; IeeeMode: 1
; LDSByteSize: 312 bytes/workgroup (compile time only)
; SGPRBlocks: 2
; VGPRBlocks: 1
; NumSGPRsForWavesPerEU: 18
; NumVGPRsForWavesPerEU: 16
; Occupancy: 16
; WaveLimiterHint : 1
; COMPUTE_PGM_RSRC2:SCRATCH_EN: 0
; COMPUTE_PGM_RSRC2:USER_SGPR: 15
; COMPUTE_PGM_RSRC2:TRAP_HANDLER: 0
; COMPUTE_PGM_RSRC2:TGID_X_EN: 1
; COMPUTE_PGM_RSRC2:TGID_Y_EN: 0
; COMPUTE_PGM_RSRC2:TGID_Z_EN: 0
; COMPUTE_PGM_RSRC2:TIDIG_COMP_CNT: 0
	.section	.text._ZN9rocsparseL22gebsrmvn_mxn_16_kernelILj52ELj13ELj4E21rocsparse_complex_numIfEEEvi20rocsparse_direction_NS_24const_host_device_scalarIT2_EEPKiS8_PKS5_iiSA_S6_PS5_21rocsparse_index_base_b,"axG",@progbits,_ZN9rocsparseL22gebsrmvn_mxn_16_kernelILj52ELj13ELj4E21rocsparse_complex_numIfEEEvi20rocsparse_direction_NS_24const_host_device_scalarIT2_EEPKiS8_PKS5_iiSA_S6_PS5_21rocsparse_index_base_b,comdat
	.globl	_ZN9rocsparseL22gebsrmvn_mxn_16_kernelILj52ELj13ELj4E21rocsparse_complex_numIfEEEvi20rocsparse_direction_NS_24const_host_device_scalarIT2_EEPKiS8_PKS5_iiSA_S6_PS5_21rocsparse_index_base_b ; -- Begin function _ZN9rocsparseL22gebsrmvn_mxn_16_kernelILj52ELj13ELj4E21rocsparse_complex_numIfEEEvi20rocsparse_direction_NS_24const_host_device_scalarIT2_EEPKiS8_PKS5_iiSA_S6_PS5_21rocsparse_index_base_b
	.p2align	8
	.type	_ZN9rocsparseL22gebsrmvn_mxn_16_kernelILj52ELj13ELj4E21rocsparse_complex_numIfEEEvi20rocsparse_direction_NS_24const_host_device_scalarIT2_EEPKiS8_PKS5_iiSA_S6_PS5_21rocsparse_index_base_b,@function
_ZN9rocsparseL22gebsrmvn_mxn_16_kernelILj52ELj13ELj4E21rocsparse_complex_numIfEEEvi20rocsparse_direction_NS_24const_host_device_scalarIT2_EEPKiS8_PKS5_iiSA_S6_PS5_21rocsparse_index_base_b: ; @_ZN9rocsparseL22gebsrmvn_mxn_16_kernelILj52ELj13ELj4E21rocsparse_complex_numIfEEEvi20rocsparse_direction_NS_24const_host_device_scalarIT2_EEPKiS8_PKS5_iiSA_S6_PS5_21rocsparse_index_base_b
; %bb.0:
	s_clause 0x2
	s_load_b64 s[10:11], s[0:1], 0x48
	s_load_b64 s[4:5], s[0:1], 0x8
	;; [unrolled: 1-line block ×3, first 2 shown]
	s_mov_b32 s8, s15
	s_waitcnt lgkmcnt(0)
	s_bitcmp1_b32 s11, 0
	v_mov_b32_e32 v9, s4
	s_cselect_b32 s6, -1, 0
	s_delay_alu instid0(SALU_CYCLE_1)
	s_and_b32 vcc_lo, exec_lo, s6
	s_xor_b32 s6, s6, -1
	s_cbranch_vccz .LBB71_15
; %bb.1:
	v_cndmask_b32_e64 v1, 0, 1, s6
	v_mov_b32_e32 v10, s5
	s_and_not1_b32 vcc_lo, exec_lo, s6
	s_cbranch_vccz .LBB71_16
.LBB71_2:
	s_delay_alu instid0(VALU_DEP_2)
	v_cmp_ne_u32_e32 vcc_lo, 1, v1
	v_mov_b32_e32 v7, s2
	s_cbranch_vccz .LBB71_17
.LBB71_3:
	v_cmp_ne_u32_e32 vcc_lo, 1, v1
	v_mov_b32_e32 v8, s3
	s_cbranch_vccnz .LBB71_5
.LBB71_4:
	v_dual_mov_b32 v1, s2 :: v_dual_mov_b32 v2, s3
	flat_load_b32 v8, v[1:2] offset:4
.LBB71_5:
	s_waitcnt vmcnt(0) lgkmcnt(0)
	v_cmp_eq_f32_e32 vcc_lo, 0, v9
	v_cmp_eq_f32_e64 s2, 0, v10
	s_delay_alu instid0(VALU_DEP_1)
	s_and_b32 s4, vcc_lo, s2
	s_mov_b32 s2, -1
	s_and_saveexec_b32 s3, s4
; %bb.6:
	v_cmp_neq_f32_e32 vcc_lo, 1.0, v7
	v_cmp_neq_f32_e64 s2, 0, v8
	s_delay_alu instid0(VALU_DEP_1) | instskip(NEXT) | instid1(SALU_CYCLE_1)
	s_or_b32 s2, vcc_lo, s2
	s_or_not1_b32 s2, s2, exec_lo
; %bb.7:
	s_or_b32 exec_lo, exec_lo, s3
	s_and_saveexec_b32 s3, s2
	s_cbranch_execz .LBB71_39
; %bb.8:
	s_clause 0x1
	s_load_b32 s4, s[0:1], 0x4
	s_load_b64 s[2:3], s[0:1], 0x10
	v_and_b32_e32 v11, 3, v0
	s_delay_alu instid0(VALU_DEP_1) | instskip(SKIP_3) | instid1(SALU_CYCLE_1)
	v_mov_b32_e32 v12, v11
	s_waitcnt lgkmcnt(0)
	s_cmp_lg_u32 s4, 1
	s_cselect_b32 s11, -1, 0
	s_and_b32 vcc_lo, exec_lo, s11
	s_cbranch_vccnz .LBB71_10
; %bb.9:
	v_mul_u32_u24_e32 v1, 0x13b2, v0
	s_delay_alu instid0(VALU_DEP_1)
	v_bfe_u32 v12, v1, 16, 2
.LBB71_10:
	s_ashr_i32 s9, s8, 31
	v_dual_mov_b32 v2, 0 :: v_dual_mov_b32 v1, 0
	s_lshl_b64 s[4:5], s[8:9], 2
	s_delay_alu instid0(SALU_CYCLE_1)
	s_add_u32 s2, s2, s4
	s_addc_u32 s3, s3, s5
	s_load_b64 s[12:13], s[2:3], 0x0
	s_load_b64 s[2:3], s[0:1], 0x40
	s_waitcnt lgkmcnt(0)
	s_cmp_ge_i32 s12, s13
	s_cbranch_scc1 .LBB71_18
; %bb.11:
	s_clause 0x1
	s_load_b128 s[4:7], s[0:1], 0x18
	s_load_b64 s[0:1], s[0:1], 0x30
	v_mad_u64_u32 v[1:2], null, s12, 52, v[0:1]
	v_mul_u32_u24_e32 v3, 0x4ed, v0
	v_mov_b32_e32 v2, 0
	s_mul_i32 s9, s10, 52
	v_mov_b32_e32 v4, 0
	s_sub_i32 s12, s12, s10
	v_lshrrev_b32_e32 v13, 16, v3
	v_subrev_nc_u32_e32 v3, s9, v1
	v_mov_b32_e32 v1, v2
	s_sub_i32 s9, s13, s10
	s_set_inst_prefetch_distance 0x1
	s_branch .LBB71_13
	.p2align	6
.LBB71_12:                              ;   in Loop: Header=BB71_13 Depth=1
	s_or_b32 exec_lo, exec_lo, s13
	v_add_nc_u32_e32 v3, 52, v3
	s_add_i32 s12, s12, 1
	s_delay_alu instid0(SALU_CYCLE_1)
	s_cmp_ge_i32 s12, s9
	s_cbranch_scc1 .LBB71_18
.LBB71_13:                              ; =>This Inner Loop Header: Depth=1
	v_add_nc_u32_e32 v5, s12, v13
	s_mov_b32 s13, exec_lo
	s_delay_alu instid0(VALU_DEP_1)
	v_cmpx_gt_i32_e64 s9, v5
	s_cbranch_execz .LBB71_12
; %bb.14:                               ;   in Loop: Header=BB71_13 Depth=1
	v_ashrrev_i32_e32 v6, 31, v5
	v_lshlrev_b64 v[14:15], 3, v[3:4]
	s_delay_alu instid0(VALU_DEP_2) | instskip(SKIP_1) | instid1(VALU_DEP_1)
	v_lshlrev_b64 v[5:6], 2, v[5:6]
	s_waitcnt lgkmcnt(0)
	v_add_co_u32 v5, vcc_lo, s4, v5
	s_delay_alu instid0(VALU_DEP_2) | instskip(NEXT) | instid1(VALU_DEP_4)
	v_add_co_ci_u32_e32 v6, vcc_lo, s5, v6, vcc_lo
	v_add_co_u32 v14, vcc_lo, s6, v14
	v_add_co_ci_u32_e32 v15, vcc_lo, s7, v15, vcc_lo
	global_load_b32 v5, v[5:6], off
	s_waitcnt vmcnt(0)
	v_subrev_nc_u32_e32 v5, s10, v5
	s_delay_alu instid0(VALU_DEP_1) | instskip(NEXT) | instid1(VALU_DEP_1)
	v_lshl_or_b32 v5, v5, 2, v12
	v_ashrrev_i32_e32 v6, 31, v5
	s_delay_alu instid0(VALU_DEP_1) | instskip(NEXT) | instid1(VALU_DEP_1)
	v_lshlrev_b64 v[5:6], 3, v[5:6]
	v_add_co_u32 v5, vcc_lo, s0, v5
	s_delay_alu instid0(VALU_DEP_2)
	v_add_co_ci_u32_e32 v6, vcc_lo, s1, v6, vcc_lo
	global_load_b64 v[14:15], v[14:15], off
	global_load_b64 v[5:6], v[5:6], off
	s_waitcnt vmcnt(0)
	v_fmac_f32_e32 v1, v14, v5
	v_fmac_f32_e32 v2, v15, v5
	s_delay_alu instid0(VALU_DEP_2) | instskip(NEXT) | instid1(VALU_DEP_2)
	v_fma_f32 v1, -v15, v6, v1
	v_fmac_f32_e32 v2, v14, v6
	s_branch .LBB71_12
.LBB71_15:
	v_dual_mov_b32 v1, s4 :: v_dual_mov_b32 v2, s5
	flat_load_b32 v9, v[1:2]
	v_cndmask_b32_e64 v1, 0, 1, s6
	v_mov_b32_e32 v10, s5
	s_and_not1_b32 vcc_lo, exec_lo, s6
	s_cbranch_vccnz .LBB71_2
.LBB71_16:
	v_dual_mov_b32 v2, s4 :: v_dual_mov_b32 v3, s5
	flat_load_b32 v10, v[2:3] offset:4
	v_cmp_ne_u32_e32 vcc_lo, 1, v1
	v_mov_b32_e32 v7, s2
	s_cbranch_vccnz .LBB71_3
.LBB71_17:
	v_dual_mov_b32 v2, s2 :: v_dual_mov_b32 v3, s3
	flat_load_b32 v7, v[2:3]
	v_cmp_ne_u32_e32 vcc_lo, 1, v1
	v_mov_b32_e32 v8, s3
	s_cbranch_vccz .LBB71_4
	s_branch .LBB71_5
.LBB71_18:
	s_set_inst_prefetch_distance 0x2
	v_lshlrev_b32_e32 v5, 3, v0
	s_and_b32 vcc_lo, exec_lo, s11
	ds_store_b64 v5, v[1:2]
	s_waitcnt lgkmcnt(0)
	s_barrier
	buffer_gl0_inv
	s_cbranch_vccz .LBB71_26
; %bb.19:
	s_mov_b32 s0, exec_lo
	v_cmpx_gt_u32_e32 2, v11
	s_cbranch_execz .LBB71_21
; %bb.20:
	ds_load_2addr_b64 v[12:15], v5 offset1:2
	s_waitcnt lgkmcnt(0)
	v_dual_add_f32 v3, v14, v12 :: v_dual_add_f32 v4, v15, v13
	ds_store_b64 v5, v[3:4]
.LBB71_21:
	s_or_b32 exec_lo, exec_lo, s0
	s_delay_alu instid0(SALU_CYCLE_1)
	s_mov_b32 s0, exec_lo
	s_waitcnt lgkmcnt(0)
	s_barrier
	buffer_gl0_inv
	v_cmpx_eq_u32_e32 0, v11
	s_cbranch_execz .LBB71_23
; %bb.22:
	ds_load_2addr_b64 v[11:14], v5 offset1:1
	s_waitcnt lgkmcnt(0)
	v_dual_add_f32 v3, v13, v11 :: v_dual_add_f32 v4, v14, v12
	ds_store_b64 v5, v[3:4]
.LBB71_23:
	s_or_b32 exec_lo, exec_lo, s0
	v_dual_mov_b32 v4, v2 :: v_dual_mov_b32 v3, v1
	s_mov_b32 s0, exec_lo
	s_waitcnt lgkmcnt(0)
	s_barrier
	buffer_gl0_inv
	v_cmpx_gt_u32_e32 13, v0
	s_cbranch_execz .LBB71_25
; %bb.24:
	v_mad_u32_u24 v3, v0, 24, v5
	ds_load_b64 v[3:4], v3
.LBB71_25:
	s_or_b32 exec_lo, exec_lo, s0
	s_branch .LBB71_34
.LBB71_26:
                                        ; implicit-def: $vgpr4
	s_cbranch_execz .LBB71_34
; %bb.27:
	s_mov_b32 s0, exec_lo
	v_cmpx_gt_u32_e32 26, v0
	s_cbranch_execz .LBB71_29
; %bb.28:
	ds_load_2addr_b64 v[11:14], v5 offset1:26
	s_waitcnt lgkmcnt(0)
	v_dual_add_f32 v3, v13, v11 :: v_dual_add_f32 v4, v14, v12
	ds_store_b64 v5, v[3:4]
.LBB71_29:
	s_or_b32 exec_lo, exec_lo, s0
	s_delay_alu instid0(SALU_CYCLE_1)
	s_mov_b32 s0, exec_lo
	s_waitcnt lgkmcnt(0)
	buffer_gl0_inv
	v_cmpx_lt_u32_e32 12, v0
	s_xor_b32 s0, exec_lo, s0
	s_cbranch_execz .LBB71_31
; %bb.30:
	buffer_gl0_inv
                                        ; implicit-def: $vgpr5
.LBB71_31:
	s_and_not1_saveexec_b32 s0, s0
	s_cbranch_execz .LBB71_33
; %bb.32:
	ds_load_2addr_b64 v[1:4], v5 offset1:13
	s_waitcnt lgkmcnt(0)
	v_dual_add_f32 v1, v3, v1 :: v_dual_add_f32 v2, v4, v2
	ds_store_b64 v5, v[1:2]
	s_waitcnt lgkmcnt(0)
	buffer_gl0_inv
	ds_load_b64 v[1:2], v5
.LBB71_33:
	s_or_b32 exec_lo, exec_lo, s0
	s_waitcnt lgkmcnt(0)
	v_dual_mov_b32 v4, v2 :: v_dual_mov_b32 v3, v1
.LBB71_34:
	v_cmp_gt_u32_e32 vcc_lo, 13, v0
	s_and_b32 exec_lo, exec_lo, vcc_lo
	s_cbranch_execz .LBB71_39
; %bb.35:
	s_waitcnt lgkmcnt(0)
	v_mul_f32_e64 v1, v4, -v10
	v_mul_f32_e32 v2, v4, v9
	v_cmp_eq_f32_e32 vcc_lo, 0, v7
	v_cmp_eq_f32_e64 s0, 0, v8
	s_delay_alu instid0(VALU_DEP_4) | instskip(NEXT) | instid1(VALU_DEP_4)
	v_fmac_f32_e32 v1, v9, v3
	v_fmac_f32_e32 v2, v10, v3
	s_delay_alu instid0(VALU_DEP_3) | instskip(NEXT) | instid1(SALU_CYCLE_1)
	s_and_b32 s0, vcc_lo, s0
	s_and_saveexec_b32 s1, s0
	s_delay_alu instid0(SALU_CYCLE_1)
	s_xor_b32 s0, exec_lo, s1
	s_cbranch_execz .LBB71_37
; %bb.36:
	v_mad_u64_u32 v[3:4], null, s8, 13, v[0:1]
	v_mov_b32_e32 v4, 0
                                        ; implicit-def: $vgpr0
                                        ; implicit-def: $vgpr7
                                        ; implicit-def: $vgpr8
	s_delay_alu instid0(VALU_DEP_1) | instskip(NEXT) | instid1(VALU_DEP_1)
	v_lshlrev_b64 v[3:4], 3, v[3:4]
	v_add_co_u32 v3, vcc_lo, s2, v3
	s_delay_alu instid0(VALU_DEP_2)
	v_add_co_ci_u32_e32 v4, vcc_lo, s3, v4, vcc_lo
	global_store_b64 v[3:4], v[1:2], off
                                        ; implicit-def: $vgpr1
.LBB71_37:
	s_and_not1_saveexec_b32 s0, s0
	s_cbranch_execz .LBB71_39
; %bb.38:
	v_mad_u64_u32 v[3:4], null, s8, 13, v[0:1]
	v_mov_b32_e32 v4, 0
	s_delay_alu instid0(VALU_DEP_1) | instskip(NEXT) | instid1(VALU_DEP_1)
	v_lshlrev_b64 v[3:4], 3, v[3:4]
	v_add_co_u32 v3, vcc_lo, s2, v3
	s_delay_alu instid0(VALU_DEP_2) | instskip(SKIP_4) | instid1(VALU_DEP_2)
	v_add_co_ci_u32_e32 v4, vcc_lo, s3, v4, vcc_lo
	global_load_b64 v[5:6], v[3:4], off
	s_waitcnt vmcnt(0)
	v_fmac_f32_e32 v1, v7, v5
	v_fmac_f32_e32 v2, v8, v5
	v_fma_f32 v1, -v8, v6, v1
	s_delay_alu instid0(VALU_DEP_2)
	v_fmac_f32_e32 v2, v7, v6
	global_store_b64 v[3:4], v[1:2], off
.LBB71_39:
	s_nop 0
	s_sendmsg sendmsg(MSG_DEALLOC_VGPRS)
	s_endpgm
	.section	.rodata,"a",@progbits
	.p2align	6, 0x0
	.amdhsa_kernel _ZN9rocsparseL22gebsrmvn_mxn_16_kernelILj52ELj13ELj4E21rocsparse_complex_numIfEEEvi20rocsparse_direction_NS_24const_host_device_scalarIT2_EEPKiS8_PKS5_iiSA_S6_PS5_21rocsparse_index_base_b
		.amdhsa_group_segment_fixed_size 416
		.amdhsa_private_segment_fixed_size 0
		.amdhsa_kernarg_size 80
		.amdhsa_user_sgpr_count 15
		.amdhsa_user_sgpr_dispatch_ptr 0
		.amdhsa_user_sgpr_queue_ptr 0
		.amdhsa_user_sgpr_kernarg_segment_ptr 1
		.amdhsa_user_sgpr_dispatch_id 0
		.amdhsa_user_sgpr_private_segment_size 0
		.amdhsa_wavefront_size32 1
		.amdhsa_uses_dynamic_stack 0
		.amdhsa_enable_private_segment 0
		.amdhsa_system_sgpr_workgroup_id_x 1
		.amdhsa_system_sgpr_workgroup_id_y 0
		.amdhsa_system_sgpr_workgroup_id_z 0
		.amdhsa_system_sgpr_workgroup_info 0
		.amdhsa_system_vgpr_workitem_id 0
		.amdhsa_next_free_vgpr 16
		.amdhsa_next_free_sgpr 16
		.amdhsa_reserve_vcc 1
		.amdhsa_float_round_mode_32 0
		.amdhsa_float_round_mode_16_64 0
		.amdhsa_float_denorm_mode_32 3
		.amdhsa_float_denorm_mode_16_64 3
		.amdhsa_dx10_clamp 1
		.amdhsa_ieee_mode 1
		.amdhsa_fp16_overflow 0
		.amdhsa_workgroup_processor_mode 1
		.amdhsa_memory_ordered 1
		.amdhsa_forward_progress 0
		.amdhsa_shared_vgpr_count 0
		.amdhsa_exception_fp_ieee_invalid_op 0
		.amdhsa_exception_fp_denorm_src 0
		.amdhsa_exception_fp_ieee_div_zero 0
		.amdhsa_exception_fp_ieee_overflow 0
		.amdhsa_exception_fp_ieee_underflow 0
		.amdhsa_exception_fp_ieee_inexact 0
		.amdhsa_exception_int_div_zero 0
	.end_amdhsa_kernel
	.section	.text._ZN9rocsparseL22gebsrmvn_mxn_16_kernelILj52ELj13ELj4E21rocsparse_complex_numIfEEEvi20rocsparse_direction_NS_24const_host_device_scalarIT2_EEPKiS8_PKS5_iiSA_S6_PS5_21rocsparse_index_base_b,"axG",@progbits,_ZN9rocsparseL22gebsrmvn_mxn_16_kernelILj52ELj13ELj4E21rocsparse_complex_numIfEEEvi20rocsparse_direction_NS_24const_host_device_scalarIT2_EEPKiS8_PKS5_iiSA_S6_PS5_21rocsparse_index_base_b,comdat
.Lfunc_end71:
	.size	_ZN9rocsparseL22gebsrmvn_mxn_16_kernelILj52ELj13ELj4E21rocsparse_complex_numIfEEEvi20rocsparse_direction_NS_24const_host_device_scalarIT2_EEPKiS8_PKS5_iiSA_S6_PS5_21rocsparse_index_base_b, .Lfunc_end71-_ZN9rocsparseL22gebsrmvn_mxn_16_kernelILj52ELj13ELj4E21rocsparse_complex_numIfEEEvi20rocsparse_direction_NS_24const_host_device_scalarIT2_EEPKiS8_PKS5_iiSA_S6_PS5_21rocsparse_index_base_b
                                        ; -- End function
	.section	.AMDGPU.csdata,"",@progbits
; Kernel info:
; codeLenInByte = 1304
; NumSgprs: 18
; NumVgprs: 16
; ScratchSize: 0
; MemoryBound: 0
; FloatMode: 240
; IeeeMode: 1
; LDSByteSize: 416 bytes/workgroup (compile time only)
; SGPRBlocks: 2
; VGPRBlocks: 1
; NumSGPRsForWavesPerEU: 18
; NumVGPRsForWavesPerEU: 16
; Occupancy: 16
; WaveLimiterHint : 1
; COMPUTE_PGM_RSRC2:SCRATCH_EN: 0
; COMPUTE_PGM_RSRC2:USER_SGPR: 15
; COMPUTE_PGM_RSRC2:TRAP_HANDLER: 0
; COMPUTE_PGM_RSRC2:TGID_X_EN: 1
; COMPUTE_PGM_RSRC2:TGID_Y_EN: 0
; COMPUTE_PGM_RSRC2:TGID_Z_EN: 0
; COMPUTE_PGM_RSRC2:TIDIG_COMP_CNT: 0
	.section	.text._ZN9rocsparseL22gebsrmvn_mxn_16_kernelILj65ELj13ELj5E21rocsparse_complex_numIfEEEvi20rocsparse_direction_NS_24const_host_device_scalarIT2_EEPKiS8_PKS5_iiSA_S6_PS5_21rocsparse_index_base_b,"axG",@progbits,_ZN9rocsparseL22gebsrmvn_mxn_16_kernelILj65ELj13ELj5E21rocsparse_complex_numIfEEEvi20rocsparse_direction_NS_24const_host_device_scalarIT2_EEPKiS8_PKS5_iiSA_S6_PS5_21rocsparse_index_base_b,comdat
	.globl	_ZN9rocsparseL22gebsrmvn_mxn_16_kernelILj65ELj13ELj5E21rocsparse_complex_numIfEEEvi20rocsparse_direction_NS_24const_host_device_scalarIT2_EEPKiS8_PKS5_iiSA_S6_PS5_21rocsparse_index_base_b ; -- Begin function _ZN9rocsparseL22gebsrmvn_mxn_16_kernelILj65ELj13ELj5E21rocsparse_complex_numIfEEEvi20rocsparse_direction_NS_24const_host_device_scalarIT2_EEPKiS8_PKS5_iiSA_S6_PS5_21rocsparse_index_base_b
	.p2align	8
	.type	_ZN9rocsparseL22gebsrmvn_mxn_16_kernelILj65ELj13ELj5E21rocsparse_complex_numIfEEEvi20rocsparse_direction_NS_24const_host_device_scalarIT2_EEPKiS8_PKS5_iiSA_S6_PS5_21rocsparse_index_base_b,@function
_ZN9rocsparseL22gebsrmvn_mxn_16_kernelILj65ELj13ELj5E21rocsparse_complex_numIfEEEvi20rocsparse_direction_NS_24const_host_device_scalarIT2_EEPKiS8_PKS5_iiSA_S6_PS5_21rocsparse_index_base_b: ; @_ZN9rocsparseL22gebsrmvn_mxn_16_kernelILj65ELj13ELj5E21rocsparse_complex_numIfEEEvi20rocsparse_direction_NS_24const_host_device_scalarIT2_EEPKiS8_PKS5_iiSA_S6_PS5_21rocsparse_index_base_b
; %bb.0:
	s_clause 0x2
	s_load_b64 s[10:11], s[0:1], 0x48
	s_load_b64 s[4:5], s[0:1], 0x8
	;; [unrolled: 1-line block ×3, first 2 shown]
	s_mov_b32 s8, s15
	s_waitcnt lgkmcnt(0)
	s_bitcmp1_b32 s11, 0
	v_mov_b32_e32 v10, s4
	s_cselect_b32 s6, -1, 0
	s_delay_alu instid0(SALU_CYCLE_1)
	s_and_b32 vcc_lo, exec_lo, s6
	s_xor_b32 s6, s6, -1
	s_cbranch_vccz .LBB72_15
; %bb.1:
	v_cndmask_b32_e64 v1, 0, 1, s6
	v_mov_b32_e32 v11, s5
	s_and_not1_b32 vcc_lo, exec_lo, s6
	s_cbranch_vccz .LBB72_16
.LBB72_2:
	s_delay_alu instid0(VALU_DEP_2)
	v_cmp_ne_u32_e32 vcc_lo, 1, v1
	v_mov_b32_e32 v8, s2
	s_cbranch_vccz .LBB72_17
.LBB72_3:
	v_cmp_ne_u32_e32 vcc_lo, 1, v1
	v_mov_b32_e32 v9, s3
	s_cbranch_vccnz .LBB72_5
.LBB72_4:
	v_dual_mov_b32 v1, s2 :: v_dual_mov_b32 v2, s3
	flat_load_b32 v9, v[1:2] offset:4
.LBB72_5:
	s_waitcnt vmcnt(0) lgkmcnt(0)
	v_cmp_eq_f32_e32 vcc_lo, 0, v10
	v_cmp_eq_f32_e64 s2, 0, v11
	s_delay_alu instid0(VALU_DEP_1)
	s_and_b32 s4, vcc_lo, s2
	s_mov_b32 s2, -1
	s_and_saveexec_b32 s3, s4
; %bb.6:
	v_cmp_neq_f32_e32 vcc_lo, 1.0, v8
	v_cmp_neq_f32_e64 s2, 0, v9
	s_delay_alu instid0(VALU_DEP_1) | instskip(NEXT) | instid1(SALU_CYCLE_1)
	s_or_b32 s2, vcc_lo, s2
	s_or_not1_b32 s2, s2, exec_lo
; %bb.7:
	s_or_b32 exec_lo, exec_lo, s3
	s_and_saveexec_b32 s3, s2
	s_cbranch_execz .LBB72_43
; %bb.8:
	v_mul_u32_u24_e32 v1, 0x3334, v0
	s_clause 0x1
	s_load_b32 s4, s[0:1], 0x4
	s_load_b64 s[2:3], s[0:1], 0x10
	s_delay_alu instid0(VALU_DEP_1) | instskip(NEXT) | instid1(VALU_DEP_1)
	v_lshrrev_b32_e32 v1, 16, v1
	v_mul_lo_u16 v1, v1, 5
	s_delay_alu instid0(VALU_DEP_1) | instskip(NEXT) | instid1(VALU_DEP_1)
	v_sub_nc_u16 v1, v0, v1
	v_and_b32_e32 v12, 0xffff, v1
	s_waitcnt lgkmcnt(0)
	s_cmp_lg_u32 s4, 1
	v_and_b32_e32 v4, 0xffff, v0
	s_cselect_b32 s11, -1, 0
	v_mov_b32_e32 v3, v12
	s_and_b32 vcc_lo, exec_lo, s11
	s_cbranch_vccnz .LBB72_10
; %bb.9:
	v_mul_u32_u24_e32 v1, 0x13b2, v4
	s_delay_alu instid0(VALU_DEP_1) | instskip(NEXT) | instid1(VALU_DEP_1)
	v_lshrrev_b32_e32 v1, 16, v1
	v_mul_lo_u16 v2, v1, 52
	s_delay_alu instid0(VALU_DEP_1) | instskip(NEXT) | instid1(VALU_DEP_1)
	v_lshrrev_b16 v2, 8, v2
	v_mul_lo_u16 v2, v2, 5
	s_delay_alu instid0(VALU_DEP_1) | instskip(NEXT) | instid1(VALU_DEP_1)
	v_sub_nc_u16 v1, v1, v2
	v_and_b32_e32 v3, 0xff, v1
.LBB72_10:
	s_ashr_i32 s9, s8, 31
	v_dual_mov_b32 v2, 0 :: v_dual_mov_b32 v1, 0
	s_lshl_b64 s[4:5], s[8:9], 2
	s_delay_alu instid0(SALU_CYCLE_1)
	s_add_u32 s2, s2, s4
	s_addc_u32 s3, s3, s5
	s_load_b64 s[12:13], s[2:3], 0x0
	s_load_b64 s[2:3], s[0:1], 0x40
	s_waitcnt lgkmcnt(0)
	s_cmp_ge_i32 s12, s13
	s_cbranch_scc1 .LBB72_18
; %bb.11:
	s_clause 0x1
	s_load_b128 s[4:7], s[0:1], 0x18
	s_load_b64 s[0:1], s[0:1], 0x30
	v_mad_u64_u32 v[1:2], null, 0x41, s12, v[0:1]
	v_mul_u32_u24_e32 v4, 0x3f1, v4
	v_dual_mov_b32 v2, 0 :: v_dual_mov_b32 v5, 0
	s_mul_i32 s9, s10, 0x41
	s_sub_i32 s12, s12, s10
	s_delay_alu instid0(VALU_DEP_2) | instskip(NEXT) | instid1(VALU_DEP_4)
	v_lshrrev_b32_e32 v13, 16, v4
	v_subrev_nc_u32_e32 v4, s9, v1
	v_mov_b32_e32 v1, v2
	s_sub_i32 s9, s13, s10
	s_set_inst_prefetch_distance 0x1
	s_branch .LBB72_13
	.p2align	6
.LBB72_12:                              ;   in Loop: Header=BB72_13 Depth=1
	s_or_b32 exec_lo, exec_lo, s13
	v_add_nc_u32_e32 v4, 0x41, v4
	s_add_i32 s12, s12, 1
	s_delay_alu instid0(SALU_CYCLE_1)
	s_cmp_ge_i32 s12, s9
	s_cbranch_scc1 .LBB72_18
.LBB72_13:                              ; =>This Inner Loop Header: Depth=1
	v_add_nc_u32_e32 v6, s12, v13
	s_mov_b32 s13, exec_lo
	s_delay_alu instid0(VALU_DEP_1)
	v_cmpx_gt_i32_e64 s9, v6
	s_cbranch_execz .LBB72_12
; %bb.14:                               ;   in Loop: Header=BB72_13 Depth=1
	v_ashrrev_i32_e32 v7, 31, v6
	s_delay_alu instid0(VALU_DEP_1) | instskip(SKIP_1) | instid1(VALU_DEP_1)
	v_lshlrev_b64 v[6:7], 2, v[6:7]
	s_waitcnt lgkmcnt(0)
	v_add_co_u32 v6, vcc_lo, s4, v6
	s_delay_alu instid0(VALU_DEP_2) | instskip(SKIP_3) | instid1(VALU_DEP_1)
	v_add_co_ci_u32_e32 v7, vcc_lo, s5, v7, vcc_lo
	global_load_b32 v6, v[6:7], off
	s_waitcnt vmcnt(0)
	v_subrev_nc_u32_e32 v14, s10, v6
	v_mad_u64_u32 v[6:7], null, v14, 5, v[3:4]
	v_lshlrev_b64 v[14:15], 3, v[4:5]
	s_delay_alu instid0(VALU_DEP_1) | instskip(NEXT) | instid1(VALU_DEP_3)
	v_add_co_u32 v14, vcc_lo, s6, v14
	v_ashrrev_i32_e32 v7, 31, v6
	s_delay_alu instid0(VALU_DEP_3) | instskip(NEXT) | instid1(VALU_DEP_2)
	v_add_co_ci_u32_e32 v15, vcc_lo, s7, v15, vcc_lo
	v_lshlrev_b64 v[6:7], 3, v[6:7]
	s_delay_alu instid0(VALU_DEP_1) | instskip(NEXT) | instid1(VALU_DEP_2)
	v_add_co_u32 v6, vcc_lo, s0, v6
	v_add_co_ci_u32_e32 v7, vcc_lo, s1, v7, vcc_lo
	global_load_b64 v[14:15], v[14:15], off
	global_load_b64 v[6:7], v[6:7], off
	s_waitcnt vmcnt(0)
	v_fmac_f32_e32 v1, v14, v6
	v_fmac_f32_e32 v2, v15, v6
	s_delay_alu instid0(VALU_DEP_2) | instskip(NEXT) | instid1(VALU_DEP_2)
	v_fma_f32 v1, -v15, v7, v1
	v_fmac_f32_e32 v2, v14, v7
	s_branch .LBB72_12
.LBB72_15:
	v_dual_mov_b32 v1, s4 :: v_dual_mov_b32 v2, s5
	flat_load_b32 v10, v[1:2]
	v_cndmask_b32_e64 v1, 0, 1, s6
	v_mov_b32_e32 v11, s5
	s_and_not1_b32 vcc_lo, exec_lo, s6
	s_cbranch_vccnz .LBB72_2
.LBB72_16:
	v_dual_mov_b32 v2, s4 :: v_dual_mov_b32 v3, s5
	flat_load_b32 v11, v[2:3] offset:4
	v_cmp_ne_u32_e32 vcc_lo, 1, v1
	v_mov_b32_e32 v8, s2
	s_cbranch_vccnz .LBB72_3
.LBB72_17:
	v_dual_mov_b32 v2, s2 :: v_dual_mov_b32 v3, s3
	flat_load_b32 v8, v[2:3]
	v_cmp_ne_u32_e32 vcc_lo, 1, v1
	v_mov_b32_e32 v9, s3
	s_cbranch_vccz .LBB72_4
	s_branch .LBB72_5
.LBB72_18:
	s_set_inst_prefetch_distance 0x2
	v_lshlrev_b32_e32 v5, 3, v0
	s_and_b32 vcc_lo, exec_lo, s11
	ds_store_b64 v5, v[1:2]
	s_waitcnt lgkmcnt(0)
	s_barrier
	buffer_gl0_inv
	s_cbranch_vccz .LBB72_28
; %bb.19:
	v_cmp_eq_u16_e32 vcc_lo, 0, v12
	s_and_saveexec_b32 s0, vcc_lo
	s_cbranch_execz .LBB72_21
; %bb.20:
	ds_load_2addr_b64 v[13:16], v5 offset1:4
	s_waitcnt lgkmcnt(0)
	v_dual_add_f32 v3, v15, v13 :: v_dual_add_f32 v4, v16, v14
	ds_store_b64 v5, v[3:4]
.LBB72_21:
	s_or_b32 exec_lo, exec_lo, s0
	s_delay_alu instid0(SALU_CYCLE_1)
	s_mov_b32 s1, exec_lo
	s_waitcnt lgkmcnt(0)
	s_barrier
	buffer_gl0_inv
	v_cmpx_gt_u16_e32 2, v12
	s_cbranch_execz .LBB72_23
; %bb.22:
	ds_load_2addr_b64 v[12:15], v5 offset1:2
	s_waitcnt lgkmcnt(0)
	v_dual_add_f32 v3, v14, v12 :: v_dual_add_f32 v4, v15, v13
	ds_store_b64 v5, v[3:4]
.LBB72_23:
	s_or_b32 exec_lo, exec_lo, s1
	s_waitcnt lgkmcnt(0)
	s_barrier
	buffer_gl0_inv
	s_and_saveexec_b32 s0, vcc_lo
	s_cbranch_execz .LBB72_25
; %bb.24:
	ds_load_2addr_b64 v[12:15], v5 offset1:1
	s_waitcnt lgkmcnt(0)
	v_dual_add_f32 v3, v14, v12 :: v_dual_add_f32 v4, v15, v13
	ds_store_b64 v5, v[3:4]
.LBB72_25:
	s_or_b32 exec_lo, exec_lo, s0
	v_dual_mov_b32 v4, v2 :: v_dual_mov_b32 v3, v1
	s_mov_b32 s0, exec_lo
	s_waitcnt lgkmcnt(0)
	s_barrier
	buffer_gl0_inv
	v_cmpx_gt_u32_e32 13, v0
	s_cbranch_execz .LBB72_27
; %bb.26:
	v_lshl_add_u32 v3, v0, 5, v5
	ds_load_b64 v[3:4], v3
.LBB72_27:
	s_or_b32 exec_lo, exec_lo, s0
	v_cmp_gt_u32_e64 s0, 13, v0
	s_branch .LBB72_38
.LBB72_28:
                                        ; implicit-def: $vgpr4
	v_cmp_gt_u32_e64 s0, 13, v0
	s_cbranch_execz .LBB72_38
; %bb.29:
	v_cmp_lt_u32_e32 vcc_lo, 12, v0
	s_delay_alu instid0(VALU_DEP_2)
	s_and_saveexec_b32 s1, s0
	s_cbranch_execz .LBB72_31
; %bb.30:
	ds_load_2addr_b64 v[12:15], v5 offset1:52
	s_waitcnt lgkmcnt(0)
	v_dual_add_f32 v3, v14, v12 :: v_dual_add_f32 v4, v15, v13
	ds_store_b64 v5, v[3:4]
.LBB72_31:
	s_or_b32 exec_lo, exec_lo, s1
	s_delay_alu instid0(SALU_CYCLE_1)
	s_mov_b32 s1, exec_lo
	s_waitcnt lgkmcnt(0)
	s_barrier
	buffer_gl0_inv
	v_cmpx_gt_u32_e32 26, v0
	s_cbranch_execz .LBB72_33
; %bb.32:
	ds_load_2addr_b64 v[12:15], v5 offset1:26
	s_waitcnt lgkmcnt(0)
	v_dual_add_f32 v3, v14, v12 :: v_dual_add_f32 v4, v15, v13
	ds_store_b64 v5, v[3:4]
.LBB72_33:
	s_or_b32 exec_lo, exec_lo, s1
	s_waitcnt lgkmcnt(0)
	buffer_gl0_inv
	s_and_saveexec_b32 s0, vcc_lo
	s_delay_alu instid0(SALU_CYCLE_1)
	s_xor_b32 s0, exec_lo, s0
	s_cbranch_execz .LBB72_35
; %bb.34:
	buffer_gl0_inv
                                        ; implicit-def: $vgpr5
.LBB72_35:
	s_and_not1_saveexec_b32 s0, s0
	s_cbranch_execz .LBB72_37
; %bb.36:
	ds_load_2addr_b64 v[1:4], v5 offset1:13
	s_waitcnt lgkmcnt(0)
	v_dual_add_f32 v1, v3, v1 :: v_dual_add_f32 v2, v4, v2
	ds_store_b64 v5, v[1:2]
	s_waitcnt lgkmcnt(0)
	buffer_gl0_inv
	ds_load_b64 v[1:2], v5
.LBB72_37:
	s_or_b32 exec_lo, exec_lo, s0
	s_waitcnt lgkmcnt(0)
	v_dual_mov_b32 v4, v2 :: v_dual_mov_b32 v3, v1
.LBB72_38:
	v_cmp_gt_u32_e32 vcc_lo, 13, v0
	s_and_b32 exec_lo, exec_lo, vcc_lo
	s_cbranch_execz .LBB72_43
; %bb.39:
	s_waitcnt lgkmcnt(0)
	v_mul_f32_e64 v1, v4, -v11
	v_mul_f32_e32 v2, v4, v10
	v_cmp_eq_f32_e32 vcc_lo, 0, v8
	v_cmp_eq_f32_e64 s0, 0, v9
	s_delay_alu instid0(VALU_DEP_4) | instskip(NEXT) | instid1(VALU_DEP_4)
	v_fmac_f32_e32 v1, v10, v3
	v_fmac_f32_e32 v2, v11, v3
	s_delay_alu instid0(VALU_DEP_3) | instskip(NEXT) | instid1(SALU_CYCLE_1)
	s_and_b32 s0, vcc_lo, s0
	s_and_saveexec_b32 s1, s0
	s_delay_alu instid0(SALU_CYCLE_1)
	s_xor_b32 s0, exec_lo, s1
	s_cbranch_execz .LBB72_41
; %bb.40:
	v_mad_u64_u32 v[3:4], null, s8, 13, v[0:1]
	v_mov_b32_e32 v4, 0
                                        ; implicit-def: $vgpr0
                                        ; implicit-def: $vgpr8
                                        ; implicit-def: $vgpr9
	s_delay_alu instid0(VALU_DEP_1) | instskip(NEXT) | instid1(VALU_DEP_1)
	v_lshlrev_b64 v[3:4], 3, v[3:4]
	v_add_co_u32 v3, vcc_lo, s2, v3
	s_delay_alu instid0(VALU_DEP_2)
	v_add_co_ci_u32_e32 v4, vcc_lo, s3, v4, vcc_lo
	global_store_b64 v[3:4], v[1:2], off
                                        ; implicit-def: $vgpr1
.LBB72_41:
	s_and_not1_saveexec_b32 s0, s0
	s_cbranch_execz .LBB72_43
; %bb.42:
	v_mad_u64_u32 v[3:4], null, s8, 13, v[0:1]
	v_mov_b32_e32 v4, 0
	s_delay_alu instid0(VALU_DEP_1) | instskip(NEXT) | instid1(VALU_DEP_1)
	v_lshlrev_b64 v[3:4], 3, v[3:4]
	v_add_co_u32 v3, vcc_lo, s2, v3
	s_delay_alu instid0(VALU_DEP_2) | instskip(SKIP_4) | instid1(VALU_DEP_2)
	v_add_co_ci_u32_e32 v4, vcc_lo, s3, v4, vcc_lo
	global_load_b64 v[5:6], v[3:4], off
	s_waitcnt vmcnt(0)
	v_fmac_f32_e32 v1, v8, v5
	v_fmac_f32_e32 v2, v9, v5
	v_fma_f32 v1, -v9, v6, v1
	s_delay_alu instid0(VALU_DEP_2)
	v_fmac_f32_e32 v2, v8, v6
	global_store_b64 v[3:4], v[1:2], off
.LBB72_43:
	s_nop 0
	s_sendmsg sendmsg(MSG_DEALLOC_VGPRS)
	s_endpgm
	.section	.rodata,"a",@progbits
	.p2align	6, 0x0
	.amdhsa_kernel _ZN9rocsparseL22gebsrmvn_mxn_16_kernelILj65ELj13ELj5E21rocsparse_complex_numIfEEEvi20rocsparse_direction_NS_24const_host_device_scalarIT2_EEPKiS8_PKS5_iiSA_S6_PS5_21rocsparse_index_base_b
		.amdhsa_group_segment_fixed_size 520
		.amdhsa_private_segment_fixed_size 0
		.amdhsa_kernarg_size 80
		.amdhsa_user_sgpr_count 15
		.amdhsa_user_sgpr_dispatch_ptr 0
		.amdhsa_user_sgpr_queue_ptr 0
		.amdhsa_user_sgpr_kernarg_segment_ptr 1
		.amdhsa_user_sgpr_dispatch_id 0
		.amdhsa_user_sgpr_private_segment_size 0
		.amdhsa_wavefront_size32 1
		.amdhsa_uses_dynamic_stack 0
		.amdhsa_enable_private_segment 0
		.amdhsa_system_sgpr_workgroup_id_x 1
		.amdhsa_system_sgpr_workgroup_id_y 0
		.amdhsa_system_sgpr_workgroup_id_z 0
		.amdhsa_system_sgpr_workgroup_info 0
		.amdhsa_system_vgpr_workitem_id 0
		.amdhsa_next_free_vgpr 17
		.amdhsa_next_free_sgpr 16
		.amdhsa_reserve_vcc 1
		.amdhsa_float_round_mode_32 0
		.amdhsa_float_round_mode_16_64 0
		.amdhsa_float_denorm_mode_32 3
		.amdhsa_float_denorm_mode_16_64 3
		.amdhsa_dx10_clamp 1
		.amdhsa_ieee_mode 1
		.amdhsa_fp16_overflow 0
		.amdhsa_workgroup_processor_mode 1
		.amdhsa_memory_ordered 1
		.amdhsa_forward_progress 0
		.amdhsa_shared_vgpr_count 0
		.amdhsa_exception_fp_ieee_invalid_op 0
		.amdhsa_exception_fp_denorm_src 0
		.amdhsa_exception_fp_ieee_div_zero 0
		.amdhsa_exception_fp_ieee_overflow 0
		.amdhsa_exception_fp_ieee_underflow 0
		.amdhsa_exception_fp_ieee_inexact 0
		.amdhsa_exception_int_div_zero 0
	.end_amdhsa_kernel
	.section	.text._ZN9rocsparseL22gebsrmvn_mxn_16_kernelILj65ELj13ELj5E21rocsparse_complex_numIfEEEvi20rocsparse_direction_NS_24const_host_device_scalarIT2_EEPKiS8_PKS5_iiSA_S6_PS5_21rocsparse_index_base_b,"axG",@progbits,_ZN9rocsparseL22gebsrmvn_mxn_16_kernelILj65ELj13ELj5E21rocsparse_complex_numIfEEEvi20rocsparse_direction_NS_24const_host_device_scalarIT2_EEPKiS8_PKS5_iiSA_S6_PS5_21rocsparse_index_base_b,comdat
.Lfunc_end72:
	.size	_ZN9rocsparseL22gebsrmvn_mxn_16_kernelILj65ELj13ELj5E21rocsparse_complex_numIfEEEvi20rocsparse_direction_NS_24const_host_device_scalarIT2_EEPKiS8_PKS5_iiSA_S6_PS5_21rocsparse_index_base_b, .Lfunc_end72-_ZN9rocsparseL22gebsrmvn_mxn_16_kernelILj65ELj13ELj5E21rocsparse_complex_numIfEEEvi20rocsparse_direction_NS_24const_host_device_scalarIT2_EEPKiS8_PKS5_iiSA_S6_PS5_21rocsparse_index_base_b
                                        ; -- End function
	.section	.AMDGPU.csdata,"",@progbits
; Kernel info:
; codeLenInByte = 1544
; NumSgprs: 18
; NumVgprs: 17
; ScratchSize: 0
; MemoryBound: 0
; FloatMode: 240
; IeeeMode: 1
; LDSByteSize: 520 bytes/workgroup (compile time only)
; SGPRBlocks: 2
; VGPRBlocks: 2
; NumSGPRsForWavesPerEU: 18
; NumVGPRsForWavesPerEU: 17
; Occupancy: 16
; WaveLimiterHint : 1
; COMPUTE_PGM_RSRC2:SCRATCH_EN: 0
; COMPUTE_PGM_RSRC2:USER_SGPR: 15
; COMPUTE_PGM_RSRC2:TRAP_HANDLER: 0
; COMPUTE_PGM_RSRC2:TGID_X_EN: 1
; COMPUTE_PGM_RSRC2:TGID_Y_EN: 0
; COMPUTE_PGM_RSRC2:TGID_Z_EN: 0
; COMPUTE_PGM_RSRC2:TIDIG_COMP_CNT: 0
	.section	.text._ZN9rocsparseL22gebsrmvn_mxn_16_kernelILj78ELj13ELj6E21rocsparse_complex_numIfEEEvi20rocsparse_direction_NS_24const_host_device_scalarIT2_EEPKiS8_PKS5_iiSA_S6_PS5_21rocsparse_index_base_b,"axG",@progbits,_ZN9rocsparseL22gebsrmvn_mxn_16_kernelILj78ELj13ELj6E21rocsparse_complex_numIfEEEvi20rocsparse_direction_NS_24const_host_device_scalarIT2_EEPKiS8_PKS5_iiSA_S6_PS5_21rocsparse_index_base_b,comdat
	.globl	_ZN9rocsparseL22gebsrmvn_mxn_16_kernelILj78ELj13ELj6E21rocsparse_complex_numIfEEEvi20rocsparse_direction_NS_24const_host_device_scalarIT2_EEPKiS8_PKS5_iiSA_S6_PS5_21rocsparse_index_base_b ; -- Begin function _ZN9rocsparseL22gebsrmvn_mxn_16_kernelILj78ELj13ELj6E21rocsparse_complex_numIfEEEvi20rocsparse_direction_NS_24const_host_device_scalarIT2_EEPKiS8_PKS5_iiSA_S6_PS5_21rocsparse_index_base_b
	.p2align	8
	.type	_ZN9rocsparseL22gebsrmvn_mxn_16_kernelILj78ELj13ELj6E21rocsparse_complex_numIfEEEvi20rocsparse_direction_NS_24const_host_device_scalarIT2_EEPKiS8_PKS5_iiSA_S6_PS5_21rocsparse_index_base_b,@function
_ZN9rocsparseL22gebsrmvn_mxn_16_kernelILj78ELj13ELj6E21rocsparse_complex_numIfEEEvi20rocsparse_direction_NS_24const_host_device_scalarIT2_EEPKiS8_PKS5_iiSA_S6_PS5_21rocsparse_index_base_b: ; @_ZN9rocsparseL22gebsrmvn_mxn_16_kernelILj78ELj13ELj6E21rocsparse_complex_numIfEEEvi20rocsparse_direction_NS_24const_host_device_scalarIT2_EEPKiS8_PKS5_iiSA_S6_PS5_21rocsparse_index_base_b
; %bb.0:
	s_clause 0x2
	s_load_b64 s[10:11], s[0:1], 0x48
	s_load_b64 s[4:5], s[0:1], 0x8
	;; [unrolled: 1-line block ×3, first 2 shown]
	s_mov_b32 s8, s15
	s_waitcnt lgkmcnt(0)
	s_bitcmp1_b32 s11, 0
	v_mov_b32_e32 v10, s4
	s_cselect_b32 s6, -1, 0
	s_delay_alu instid0(SALU_CYCLE_1)
	s_and_b32 vcc_lo, exec_lo, s6
	s_xor_b32 s6, s6, -1
	s_cbranch_vccz .LBB73_15
; %bb.1:
	v_cndmask_b32_e64 v1, 0, 1, s6
	v_mov_b32_e32 v11, s5
	s_and_not1_b32 vcc_lo, exec_lo, s6
	s_cbranch_vccz .LBB73_16
.LBB73_2:
	s_delay_alu instid0(VALU_DEP_2)
	v_cmp_ne_u32_e32 vcc_lo, 1, v1
	v_mov_b32_e32 v8, s2
	s_cbranch_vccz .LBB73_17
.LBB73_3:
	v_cmp_ne_u32_e32 vcc_lo, 1, v1
	v_mov_b32_e32 v9, s3
	s_cbranch_vccnz .LBB73_5
.LBB73_4:
	v_dual_mov_b32 v1, s2 :: v_dual_mov_b32 v2, s3
	flat_load_b32 v9, v[1:2] offset:4
.LBB73_5:
	s_waitcnt vmcnt(0) lgkmcnt(0)
	v_cmp_eq_f32_e32 vcc_lo, 0, v10
	v_cmp_eq_f32_e64 s2, 0, v11
	s_delay_alu instid0(VALU_DEP_1)
	s_and_b32 s4, vcc_lo, s2
	s_mov_b32 s2, -1
	s_and_saveexec_b32 s3, s4
; %bb.6:
	v_cmp_neq_f32_e32 vcc_lo, 1.0, v8
	v_cmp_neq_f32_e64 s2, 0, v9
	s_delay_alu instid0(VALU_DEP_1) | instskip(NEXT) | instid1(SALU_CYCLE_1)
	s_or_b32 s2, vcc_lo, s2
	s_or_not1_b32 s2, s2, exec_lo
; %bb.7:
	s_or_b32 exec_lo, exec_lo, s3
	s_and_saveexec_b32 s3, s2
	s_cbranch_execz .LBB73_43
; %bb.8:
	v_mul_u32_u24_e32 v1, 0x2aab, v0
	s_clause 0x1
	s_load_b32 s4, s[0:1], 0x4
	s_load_b64 s[2:3], s[0:1], 0x10
	s_delay_alu instid0(VALU_DEP_1) | instskip(NEXT) | instid1(VALU_DEP_1)
	v_lshrrev_b32_e32 v1, 16, v1
	v_mul_lo_u16 v1, v1, 6
	s_delay_alu instid0(VALU_DEP_1) | instskip(NEXT) | instid1(VALU_DEP_1)
	v_sub_nc_u16 v1, v0, v1
	v_and_b32_e32 v12, 0xffff, v1
	s_waitcnt lgkmcnt(0)
	s_cmp_lg_u32 s4, 1
	v_and_b32_e32 v4, 0xffff, v0
	s_cselect_b32 s11, -1, 0
	v_mov_b32_e32 v3, v12
	s_and_b32 vcc_lo, exec_lo, s11
	s_cbranch_vccnz .LBB73_10
; %bb.9:
	v_mul_u32_u24_e32 v1, 0x13b2, v4
	s_delay_alu instid0(VALU_DEP_1) | instskip(NEXT) | instid1(VALU_DEP_1)
	v_lshrrev_b32_e32 v1, 16, v1
	v_mul_lo_u16 v2, v1, 43
	s_delay_alu instid0(VALU_DEP_1) | instskip(NEXT) | instid1(VALU_DEP_1)
	v_lshrrev_b16 v2, 8, v2
	v_mul_lo_u16 v2, v2, 6
	s_delay_alu instid0(VALU_DEP_1) | instskip(NEXT) | instid1(VALU_DEP_1)
	v_sub_nc_u16 v1, v1, v2
	v_and_b32_e32 v3, 0xff, v1
.LBB73_10:
	s_ashr_i32 s9, s8, 31
	v_dual_mov_b32 v2, 0 :: v_dual_mov_b32 v1, 0
	s_lshl_b64 s[4:5], s[8:9], 2
	s_delay_alu instid0(SALU_CYCLE_1)
	s_add_u32 s2, s2, s4
	s_addc_u32 s3, s3, s5
	s_load_b64 s[12:13], s[2:3], 0x0
	s_load_b64 s[2:3], s[0:1], 0x40
	s_waitcnt lgkmcnt(0)
	s_cmp_ge_i32 s12, s13
	s_cbranch_scc1 .LBB73_18
; %bb.11:
	s_clause 0x1
	s_load_b128 s[4:7], s[0:1], 0x18
	s_load_b64 s[0:1], s[0:1], 0x30
	v_mad_u64_u32 v[1:2], null, 0x4e, s12, v[0:1]
	v_mul_u32_u24_e32 v4, 0x349, v4
	v_dual_mov_b32 v2, 0 :: v_dual_mov_b32 v5, 0
	s_mul_i32 s9, s10, 0x4e
	s_sub_i32 s12, s12, s10
	s_delay_alu instid0(VALU_DEP_2) | instskip(NEXT) | instid1(VALU_DEP_4)
	v_lshrrev_b32_e32 v13, 16, v4
	v_subrev_nc_u32_e32 v4, s9, v1
	v_mov_b32_e32 v1, v2
	s_sub_i32 s9, s13, s10
	s_set_inst_prefetch_distance 0x1
	s_branch .LBB73_13
	.p2align	6
.LBB73_12:                              ;   in Loop: Header=BB73_13 Depth=1
	s_or_b32 exec_lo, exec_lo, s13
	v_add_nc_u32_e32 v4, 0x4e, v4
	s_add_i32 s12, s12, 1
	s_delay_alu instid0(SALU_CYCLE_1)
	s_cmp_ge_i32 s12, s9
	s_cbranch_scc1 .LBB73_18
.LBB73_13:                              ; =>This Inner Loop Header: Depth=1
	v_add_nc_u32_e32 v6, s12, v13
	s_mov_b32 s13, exec_lo
	s_delay_alu instid0(VALU_DEP_1)
	v_cmpx_gt_i32_e64 s9, v6
	s_cbranch_execz .LBB73_12
; %bb.14:                               ;   in Loop: Header=BB73_13 Depth=1
	v_ashrrev_i32_e32 v7, 31, v6
	s_delay_alu instid0(VALU_DEP_1) | instskip(SKIP_1) | instid1(VALU_DEP_1)
	v_lshlrev_b64 v[6:7], 2, v[6:7]
	s_waitcnt lgkmcnt(0)
	v_add_co_u32 v6, vcc_lo, s4, v6
	s_delay_alu instid0(VALU_DEP_2) | instskip(SKIP_3) | instid1(VALU_DEP_1)
	v_add_co_ci_u32_e32 v7, vcc_lo, s5, v7, vcc_lo
	global_load_b32 v6, v[6:7], off
	s_waitcnt vmcnt(0)
	v_subrev_nc_u32_e32 v14, s10, v6
	v_mad_u64_u32 v[6:7], null, v14, 6, v[3:4]
	v_lshlrev_b64 v[14:15], 3, v[4:5]
	s_delay_alu instid0(VALU_DEP_1) | instskip(NEXT) | instid1(VALU_DEP_3)
	v_add_co_u32 v14, vcc_lo, s6, v14
	v_ashrrev_i32_e32 v7, 31, v6
	s_delay_alu instid0(VALU_DEP_3) | instskip(NEXT) | instid1(VALU_DEP_2)
	v_add_co_ci_u32_e32 v15, vcc_lo, s7, v15, vcc_lo
	v_lshlrev_b64 v[6:7], 3, v[6:7]
	s_delay_alu instid0(VALU_DEP_1) | instskip(NEXT) | instid1(VALU_DEP_2)
	v_add_co_u32 v6, vcc_lo, s0, v6
	v_add_co_ci_u32_e32 v7, vcc_lo, s1, v7, vcc_lo
	global_load_b64 v[14:15], v[14:15], off
	global_load_b64 v[6:7], v[6:7], off
	s_waitcnt vmcnt(0)
	v_fmac_f32_e32 v1, v14, v6
	v_fmac_f32_e32 v2, v15, v6
	s_delay_alu instid0(VALU_DEP_2) | instskip(NEXT) | instid1(VALU_DEP_2)
	v_fma_f32 v1, -v15, v7, v1
	v_fmac_f32_e32 v2, v14, v7
	s_branch .LBB73_12
.LBB73_15:
	v_dual_mov_b32 v1, s4 :: v_dual_mov_b32 v2, s5
	flat_load_b32 v10, v[1:2]
	v_cndmask_b32_e64 v1, 0, 1, s6
	v_mov_b32_e32 v11, s5
	s_and_not1_b32 vcc_lo, exec_lo, s6
	s_cbranch_vccnz .LBB73_2
.LBB73_16:
	v_dual_mov_b32 v2, s4 :: v_dual_mov_b32 v3, s5
	flat_load_b32 v11, v[2:3] offset:4
	v_cmp_ne_u32_e32 vcc_lo, 1, v1
	v_mov_b32_e32 v8, s2
	s_cbranch_vccnz .LBB73_3
.LBB73_17:
	v_dual_mov_b32 v2, s2 :: v_dual_mov_b32 v3, s3
	flat_load_b32 v8, v[2:3]
	v_cmp_ne_u32_e32 vcc_lo, 1, v1
	v_mov_b32_e32 v9, s3
	s_cbranch_vccz .LBB73_4
	s_branch .LBB73_5
.LBB73_18:
	s_set_inst_prefetch_distance 0x2
	v_lshlrev_b32_e32 v5, 3, v0
	s_and_b32 vcc_lo, exec_lo, s11
	ds_store_b64 v5, v[1:2]
	s_waitcnt lgkmcnt(0)
	s_barrier
	buffer_gl0_inv
	s_cbranch_vccz .LBB73_28
; %bb.19:
	v_cmp_gt_u16_e32 vcc_lo, 2, v12
	s_and_saveexec_b32 s0, vcc_lo
	s_cbranch_execz .LBB73_21
; %bb.20:
	ds_load_2addr_b64 v[13:16], v5 offset1:4
	s_waitcnt lgkmcnt(0)
	v_dual_add_f32 v3, v15, v13 :: v_dual_add_f32 v4, v16, v14
	ds_store_b64 v5, v[3:4]
.LBB73_21:
	s_or_b32 exec_lo, exec_lo, s0
	s_waitcnt lgkmcnt(0)
	s_barrier
	buffer_gl0_inv
	s_and_saveexec_b32 s0, vcc_lo
	s_cbranch_execz .LBB73_23
; %bb.22:
	ds_load_2addr_b64 v[13:16], v5 offset1:2
	s_waitcnt lgkmcnt(0)
	v_dual_add_f32 v3, v15, v13 :: v_dual_add_f32 v4, v16, v14
	ds_store_b64 v5, v[3:4]
.LBB73_23:
	s_or_b32 exec_lo, exec_lo, s0
	s_delay_alu instid0(SALU_CYCLE_1)
	s_mov_b32 s0, exec_lo
	s_waitcnt lgkmcnt(0)
	s_barrier
	buffer_gl0_inv
	v_cmpx_eq_u16_e32 0, v12
	s_cbranch_execz .LBB73_25
; %bb.24:
	ds_load_2addr_b64 v[12:15], v5 offset1:1
	s_waitcnt lgkmcnt(0)
	v_dual_add_f32 v3, v14, v12 :: v_dual_add_f32 v4, v15, v13
	ds_store_b64 v5, v[3:4]
.LBB73_25:
	s_or_b32 exec_lo, exec_lo, s0
	v_dual_mov_b32 v4, v2 :: v_dual_mov_b32 v3, v1
	s_mov_b32 s0, exec_lo
	s_waitcnt lgkmcnt(0)
	s_barrier
	buffer_gl0_inv
	v_cmpx_gt_u32_e32 13, v0
	s_cbranch_execz .LBB73_27
; %bb.26:
	v_mad_u32_u24 v3, v0, 40, v5
	ds_load_b64 v[3:4], v3
.LBB73_27:
	s_or_b32 exec_lo, exec_lo, s0
	s_branch .LBB73_38
.LBB73_28:
                                        ; implicit-def: $vgpr4
	s_cbranch_execz .LBB73_38
; %bb.29:
	v_cmp_gt_u32_e32 vcc_lo, 26, v0
	s_and_saveexec_b32 s0, vcc_lo
	s_cbranch_execz .LBB73_31
; %bb.30:
	ds_load_2addr_b64 v[12:15], v5 offset1:52
	s_waitcnt lgkmcnt(0)
	v_dual_add_f32 v3, v14, v12 :: v_dual_add_f32 v4, v15, v13
	ds_store_b64 v5, v[3:4]
.LBB73_31:
	s_or_b32 exec_lo, exec_lo, s0
	s_waitcnt lgkmcnt(0)
	s_barrier
	buffer_gl0_inv
	s_and_saveexec_b32 s0, vcc_lo
	s_cbranch_execz .LBB73_33
; %bb.32:
	ds_load_2addr_b64 v[12:15], v5 offset1:26
	s_waitcnt lgkmcnt(0)
	v_dual_add_f32 v3, v14, v12 :: v_dual_add_f32 v4, v15, v13
	ds_store_b64 v5, v[3:4]
.LBB73_33:
	s_or_b32 exec_lo, exec_lo, s0
	s_delay_alu instid0(SALU_CYCLE_1)
	s_mov_b32 s0, exec_lo
	s_waitcnt lgkmcnt(0)
	buffer_gl0_inv
	v_cmpx_lt_u32_e32 12, v0
	s_xor_b32 s0, exec_lo, s0
	s_cbranch_execz .LBB73_35
; %bb.34:
	buffer_gl0_inv
                                        ; implicit-def: $vgpr5
.LBB73_35:
	s_and_not1_saveexec_b32 s0, s0
	s_cbranch_execz .LBB73_37
; %bb.36:
	ds_load_2addr_b64 v[1:4], v5 offset1:13
	s_waitcnt lgkmcnt(0)
	v_dual_add_f32 v1, v3, v1 :: v_dual_add_f32 v2, v4, v2
	ds_store_b64 v5, v[1:2]
	s_waitcnt lgkmcnt(0)
	buffer_gl0_inv
	ds_load_b64 v[1:2], v5
.LBB73_37:
	s_or_b32 exec_lo, exec_lo, s0
	s_waitcnt lgkmcnt(0)
	v_dual_mov_b32 v4, v2 :: v_dual_mov_b32 v3, v1
.LBB73_38:
	v_cmp_gt_u32_e32 vcc_lo, 13, v0
	s_and_b32 exec_lo, exec_lo, vcc_lo
	s_cbranch_execz .LBB73_43
; %bb.39:
	s_waitcnt lgkmcnt(0)
	v_mul_f32_e64 v1, v4, -v11
	v_mul_f32_e32 v2, v4, v10
	v_cmp_eq_f32_e32 vcc_lo, 0, v8
	v_cmp_eq_f32_e64 s0, 0, v9
	s_delay_alu instid0(VALU_DEP_4) | instskip(NEXT) | instid1(VALU_DEP_4)
	v_fmac_f32_e32 v1, v10, v3
	v_fmac_f32_e32 v2, v11, v3
	s_delay_alu instid0(VALU_DEP_3) | instskip(NEXT) | instid1(SALU_CYCLE_1)
	s_and_b32 s0, vcc_lo, s0
	s_and_saveexec_b32 s1, s0
	s_delay_alu instid0(SALU_CYCLE_1)
	s_xor_b32 s0, exec_lo, s1
	s_cbranch_execz .LBB73_41
; %bb.40:
	v_mad_u64_u32 v[3:4], null, s8, 13, v[0:1]
	v_mov_b32_e32 v4, 0
                                        ; implicit-def: $vgpr0
                                        ; implicit-def: $vgpr8
                                        ; implicit-def: $vgpr9
	s_delay_alu instid0(VALU_DEP_1) | instskip(NEXT) | instid1(VALU_DEP_1)
	v_lshlrev_b64 v[3:4], 3, v[3:4]
	v_add_co_u32 v3, vcc_lo, s2, v3
	s_delay_alu instid0(VALU_DEP_2)
	v_add_co_ci_u32_e32 v4, vcc_lo, s3, v4, vcc_lo
	global_store_b64 v[3:4], v[1:2], off
                                        ; implicit-def: $vgpr1
.LBB73_41:
	s_and_not1_saveexec_b32 s0, s0
	s_cbranch_execz .LBB73_43
; %bb.42:
	v_mad_u64_u32 v[3:4], null, s8, 13, v[0:1]
	v_mov_b32_e32 v4, 0
	s_delay_alu instid0(VALU_DEP_1) | instskip(NEXT) | instid1(VALU_DEP_1)
	v_lshlrev_b64 v[3:4], 3, v[3:4]
	v_add_co_u32 v3, vcc_lo, s2, v3
	s_delay_alu instid0(VALU_DEP_2) | instskip(SKIP_4) | instid1(VALU_DEP_2)
	v_add_co_ci_u32_e32 v4, vcc_lo, s3, v4, vcc_lo
	global_load_b64 v[5:6], v[3:4], off
	s_waitcnt vmcnt(0)
	v_fmac_f32_e32 v1, v8, v5
	v_fmac_f32_e32 v2, v9, v5
	v_fma_f32 v1, -v9, v6, v1
	s_delay_alu instid0(VALU_DEP_2)
	v_fmac_f32_e32 v2, v8, v6
	global_store_b64 v[3:4], v[1:2], off
.LBB73_43:
	s_nop 0
	s_sendmsg sendmsg(MSG_DEALLOC_VGPRS)
	s_endpgm
	.section	.rodata,"a",@progbits
	.p2align	6, 0x0
	.amdhsa_kernel _ZN9rocsparseL22gebsrmvn_mxn_16_kernelILj78ELj13ELj6E21rocsparse_complex_numIfEEEvi20rocsparse_direction_NS_24const_host_device_scalarIT2_EEPKiS8_PKS5_iiSA_S6_PS5_21rocsparse_index_base_b
		.amdhsa_group_segment_fixed_size 624
		.amdhsa_private_segment_fixed_size 0
		.amdhsa_kernarg_size 80
		.amdhsa_user_sgpr_count 15
		.amdhsa_user_sgpr_dispatch_ptr 0
		.amdhsa_user_sgpr_queue_ptr 0
		.amdhsa_user_sgpr_kernarg_segment_ptr 1
		.amdhsa_user_sgpr_dispatch_id 0
		.amdhsa_user_sgpr_private_segment_size 0
		.amdhsa_wavefront_size32 1
		.amdhsa_uses_dynamic_stack 0
		.amdhsa_enable_private_segment 0
		.amdhsa_system_sgpr_workgroup_id_x 1
		.amdhsa_system_sgpr_workgroup_id_y 0
		.amdhsa_system_sgpr_workgroup_id_z 0
		.amdhsa_system_sgpr_workgroup_info 0
		.amdhsa_system_vgpr_workitem_id 0
		.amdhsa_next_free_vgpr 17
		.amdhsa_next_free_sgpr 16
		.amdhsa_reserve_vcc 1
		.amdhsa_float_round_mode_32 0
		.amdhsa_float_round_mode_16_64 0
		.amdhsa_float_denorm_mode_32 3
		.amdhsa_float_denorm_mode_16_64 3
		.amdhsa_dx10_clamp 1
		.amdhsa_ieee_mode 1
		.amdhsa_fp16_overflow 0
		.amdhsa_workgroup_processor_mode 1
		.amdhsa_memory_ordered 1
		.amdhsa_forward_progress 0
		.amdhsa_shared_vgpr_count 0
		.amdhsa_exception_fp_ieee_invalid_op 0
		.amdhsa_exception_fp_denorm_src 0
		.amdhsa_exception_fp_ieee_div_zero 0
		.amdhsa_exception_fp_ieee_overflow 0
		.amdhsa_exception_fp_ieee_underflow 0
		.amdhsa_exception_fp_ieee_inexact 0
		.amdhsa_exception_int_div_zero 0
	.end_amdhsa_kernel
	.section	.text._ZN9rocsparseL22gebsrmvn_mxn_16_kernelILj78ELj13ELj6E21rocsparse_complex_numIfEEEvi20rocsparse_direction_NS_24const_host_device_scalarIT2_EEPKiS8_PKS5_iiSA_S6_PS5_21rocsparse_index_base_b,"axG",@progbits,_ZN9rocsparseL22gebsrmvn_mxn_16_kernelILj78ELj13ELj6E21rocsparse_complex_numIfEEEvi20rocsparse_direction_NS_24const_host_device_scalarIT2_EEPKiS8_PKS5_iiSA_S6_PS5_21rocsparse_index_base_b,comdat
.Lfunc_end73:
	.size	_ZN9rocsparseL22gebsrmvn_mxn_16_kernelILj78ELj13ELj6E21rocsparse_complex_numIfEEEvi20rocsparse_direction_NS_24const_host_device_scalarIT2_EEPKiS8_PKS5_iiSA_S6_PS5_21rocsparse_index_base_b, .Lfunc_end73-_ZN9rocsparseL22gebsrmvn_mxn_16_kernelILj78ELj13ELj6E21rocsparse_complex_numIfEEEvi20rocsparse_direction_NS_24const_host_device_scalarIT2_EEPKiS8_PKS5_iiSA_S6_PS5_21rocsparse_index_base_b
                                        ; -- End function
	.section	.AMDGPU.csdata,"",@progbits
; Kernel info:
; codeLenInByte = 1520
; NumSgprs: 18
; NumVgprs: 17
; ScratchSize: 0
; MemoryBound: 0
; FloatMode: 240
; IeeeMode: 1
; LDSByteSize: 624 bytes/workgroup (compile time only)
; SGPRBlocks: 2
; VGPRBlocks: 2
; NumSGPRsForWavesPerEU: 18
; NumVGPRsForWavesPerEU: 17
; Occupancy: 16
; WaveLimiterHint : 1
; COMPUTE_PGM_RSRC2:SCRATCH_EN: 0
; COMPUTE_PGM_RSRC2:USER_SGPR: 15
; COMPUTE_PGM_RSRC2:TRAP_HANDLER: 0
; COMPUTE_PGM_RSRC2:TGID_X_EN: 1
; COMPUTE_PGM_RSRC2:TGID_Y_EN: 0
; COMPUTE_PGM_RSRC2:TGID_Z_EN: 0
; COMPUTE_PGM_RSRC2:TIDIG_COMP_CNT: 0
	.section	.text._ZN9rocsparseL22gebsrmvn_mxn_16_kernelILj91ELj13ELj7E21rocsparse_complex_numIfEEEvi20rocsparse_direction_NS_24const_host_device_scalarIT2_EEPKiS8_PKS5_iiSA_S6_PS5_21rocsparse_index_base_b,"axG",@progbits,_ZN9rocsparseL22gebsrmvn_mxn_16_kernelILj91ELj13ELj7E21rocsparse_complex_numIfEEEvi20rocsparse_direction_NS_24const_host_device_scalarIT2_EEPKiS8_PKS5_iiSA_S6_PS5_21rocsparse_index_base_b,comdat
	.globl	_ZN9rocsparseL22gebsrmvn_mxn_16_kernelILj91ELj13ELj7E21rocsparse_complex_numIfEEEvi20rocsparse_direction_NS_24const_host_device_scalarIT2_EEPKiS8_PKS5_iiSA_S6_PS5_21rocsparse_index_base_b ; -- Begin function _ZN9rocsparseL22gebsrmvn_mxn_16_kernelILj91ELj13ELj7E21rocsparse_complex_numIfEEEvi20rocsparse_direction_NS_24const_host_device_scalarIT2_EEPKiS8_PKS5_iiSA_S6_PS5_21rocsparse_index_base_b
	.p2align	8
	.type	_ZN9rocsparseL22gebsrmvn_mxn_16_kernelILj91ELj13ELj7E21rocsparse_complex_numIfEEEvi20rocsparse_direction_NS_24const_host_device_scalarIT2_EEPKiS8_PKS5_iiSA_S6_PS5_21rocsparse_index_base_b,@function
_ZN9rocsparseL22gebsrmvn_mxn_16_kernelILj91ELj13ELj7E21rocsparse_complex_numIfEEEvi20rocsparse_direction_NS_24const_host_device_scalarIT2_EEPKiS8_PKS5_iiSA_S6_PS5_21rocsparse_index_base_b: ; @_ZN9rocsparseL22gebsrmvn_mxn_16_kernelILj91ELj13ELj7E21rocsparse_complex_numIfEEEvi20rocsparse_direction_NS_24const_host_device_scalarIT2_EEPKiS8_PKS5_iiSA_S6_PS5_21rocsparse_index_base_b
; %bb.0:
	s_clause 0x2
	s_load_b64 s[10:11], s[0:1], 0x48
	s_load_b64 s[4:5], s[0:1], 0x8
	;; [unrolled: 1-line block ×3, first 2 shown]
	s_mov_b32 s8, s15
	s_waitcnt lgkmcnt(0)
	s_bitcmp1_b32 s11, 0
	v_mov_b32_e32 v10, s4
	s_cselect_b32 s6, -1, 0
	s_delay_alu instid0(SALU_CYCLE_1)
	s_and_b32 vcc_lo, exec_lo, s6
	s_xor_b32 s6, s6, -1
	s_cbranch_vccz .LBB74_15
; %bb.1:
	v_cndmask_b32_e64 v1, 0, 1, s6
	v_mov_b32_e32 v11, s5
	s_and_not1_b32 vcc_lo, exec_lo, s6
	s_cbranch_vccz .LBB74_16
.LBB74_2:
	s_delay_alu instid0(VALU_DEP_2)
	v_cmp_ne_u32_e32 vcc_lo, 1, v1
	v_mov_b32_e32 v8, s2
	s_cbranch_vccz .LBB74_17
.LBB74_3:
	v_cmp_ne_u32_e32 vcc_lo, 1, v1
	v_mov_b32_e32 v9, s3
	s_cbranch_vccnz .LBB74_5
.LBB74_4:
	v_dual_mov_b32 v1, s2 :: v_dual_mov_b32 v2, s3
	flat_load_b32 v9, v[1:2] offset:4
.LBB74_5:
	s_waitcnt vmcnt(0) lgkmcnt(0)
	v_cmp_eq_f32_e32 vcc_lo, 0, v10
	v_cmp_eq_f32_e64 s2, 0, v11
	s_delay_alu instid0(VALU_DEP_1)
	s_and_b32 s4, vcc_lo, s2
	s_mov_b32 s2, -1
	s_and_saveexec_b32 s3, s4
; %bb.6:
	v_cmp_neq_f32_e32 vcc_lo, 1.0, v8
	v_cmp_neq_f32_e64 s2, 0, v9
	s_delay_alu instid0(VALU_DEP_1) | instskip(NEXT) | instid1(SALU_CYCLE_1)
	s_or_b32 s2, vcc_lo, s2
	s_or_not1_b32 s2, s2, exec_lo
; %bb.7:
	s_or_b32 exec_lo, exec_lo, s3
	s_and_saveexec_b32 s3, s2
	s_cbranch_execz .LBB74_43
; %bb.8:
	v_mul_u32_u24_e32 v1, 0x2493, v0
	s_clause 0x1
	s_load_b32 s4, s[0:1], 0x4
	s_load_b64 s[2:3], s[0:1], 0x10
	s_delay_alu instid0(VALU_DEP_1) | instskip(NEXT) | instid1(VALU_DEP_1)
	v_lshrrev_b32_e32 v1, 16, v1
	v_mul_lo_u16 v1, v1, 7
	s_delay_alu instid0(VALU_DEP_1) | instskip(NEXT) | instid1(VALU_DEP_1)
	v_sub_nc_u16 v1, v0, v1
	v_and_b32_e32 v12, 0xffff, v1
	s_waitcnt lgkmcnt(0)
	s_cmp_lg_u32 s4, 1
	v_and_b32_e32 v4, 0xffff, v0
	s_cselect_b32 s11, -1, 0
	v_mov_b32_e32 v3, v12
	s_and_b32 vcc_lo, exec_lo, s11
	s_cbranch_vccnz .LBB74_10
; %bb.9:
	v_mul_u32_u24_e32 v1, 0x13b2, v4
	s_delay_alu instid0(VALU_DEP_1) | instskip(NEXT) | instid1(VALU_DEP_1)
	v_lshrrev_b32_e32 v1, 16, v1
	v_mul_lo_u16 v2, v1, 37
	s_delay_alu instid0(VALU_DEP_1) | instskip(NEXT) | instid1(VALU_DEP_1)
	v_lshrrev_b16 v2, 8, v2
	v_mul_lo_u16 v2, v2, 7
	s_delay_alu instid0(VALU_DEP_1) | instskip(NEXT) | instid1(VALU_DEP_1)
	v_sub_nc_u16 v1, v1, v2
	v_and_b32_e32 v3, 0xff, v1
.LBB74_10:
	s_ashr_i32 s9, s8, 31
	v_dual_mov_b32 v2, 0 :: v_dual_mov_b32 v1, 0
	s_lshl_b64 s[4:5], s[8:9], 2
	s_delay_alu instid0(SALU_CYCLE_1)
	s_add_u32 s2, s2, s4
	s_addc_u32 s3, s3, s5
	s_load_b64 s[12:13], s[2:3], 0x0
	s_load_b64 s[2:3], s[0:1], 0x40
	s_waitcnt lgkmcnt(0)
	s_cmp_ge_i32 s12, s13
	s_cbranch_scc1 .LBB74_18
; %bb.11:
	s_clause 0x1
	s_load_b128 s[4:7], s[0:1], 0x18
	s_load_b64 s[0:1], s[0:1], 0x30
	v_mad_u64_u32 v[1:2], null, 0x5b, s12, v[0:1]
	v_mul_u32_u24_e32 v4, 0x2d1, v4
	v_dual_mov_b32 v2, 0 :: v_dual_mov_b32 v5, 0
	s_mul_i32 s9, s10, 0x5b
	s_sub_i32 s12, s12, s10
	s_delay_alu instid0(VALU_DEP_2) | instskip(NEXT) | instid1(VALU_DEP_4)
	v_lshrrev_b32_e32 v13, 16, v4
	v_subrev_nc_u32_e32 v4, s9, v1
	v_mov_b32_e32 v1, v2
	s_sub_i32 s9, s13, s10
	s_set_inst_prefetch_distance 0x1
	s_branch .LBB74_13
	.p2align	6
.LBB74_12:                              ;   in Loop: Header=BB74_13 Depth=1
	s_or_b32 exec_lo, exec_lo, s13
	v_add_nc_u32_e32 v4, 0x5b, v4
	s_add_i32 s12, s12, 1
	s_delay_alu instid0(SALU_CYCLE_1)
	s_cmp_ge_i32 s12, s9
	s_cbranch_scc1 .LBB74_18
.LBB74_13:                              ; =>This Inner Loop Header: Depth=1
	v_add_nc_u32_e32 v6, s12, v13
	s_mov_b32 s13, exec_lo
	s_delay_alu instid0(VALU_DEP_1)
	v_cmpx_gt_i32_e64 s9, v6
	s_cbranch_execz .LBB74_12
; %bb.14:                               ;   in Loop: Header=BB74_13 Depth=1
	v_ashrrev_i32_e32 v7, 31, v6
	s_delay_alu instid0(VALU_DEP_1) | instskip(SKIP_1) | instid1(VALU_DEP_1)
	v_lshlrev_b64 v[6:7], 2, v[6:7]
	s_waitcnt lgkmcnt(0)
	v_add_co_u32 v6, vcc_lo, s4, v6
	s_delay_alu instid0(VALU_DEP_2) | instskip(SKIP_3) | instid1(VALU_DEP_1)
	v_add_co_ci_u32_e32 v7, vcc_lo, s5, v7, vcc_lo
	global_load_b32 v6, v[6:7], off
	s_waitcnt vmcnt(0)
	v_subrev_nc_u32_e32 v14, s10, v6
	v_mad_u64_u32 v[6:7], null, v14, 7, v[3:4]
	v_lshlrev_b64 v[14:15], 3, v[4:5]
	s_delay_alu instid0(VALU_DEP_1) | instskip(NEXT) | instid1(VALU_DEP_3)
	v_add_co_u32 v14, vcc_lo, s6, v14
	v_ashrrev_i32_e32 v7, 31, v6
	s_delay_alu instid0(VALU_DEP_3) | instskip(NEXT) | instid1(VALU_DEP_2)
	v_add_co_ci_u32_e32 v15, vcc_lo, s7, v15, vcc_lo
	v_lshlrev_b64 v[6:7], 3, v[6:7]
	s_delay_alu instid0(VALU_DEP_1) | instskip(NEXT) | instid1(VALU_DEP_2)
	v_add_co_u32 v6, vcc_lo, s0, v6
	v_add_co_ci_u32_e32 v7, vcc_lo, s1, v7, vcc_lo
	global_load_b64 v[14:15], v[14:15], off
	global_load_b64 v[6:7], v[6:7], off
	s_waitcnt vmcnt(0)
	v_fmac_f32_e32 v1, v14, v6
	v_fmac_f32_e32 v2, v15, v6
	s_delay_alu instid0(VALU_DEP_2) | instskip(NEXT) | instid1(VALU_DEP_2)
	v_fma_f32 v1, -v15, v7, v1
	v_fmac_f32_e32 v2, v14, v7
	s_branch .LBB74_12
.LBB74_15:
	v_dual_mov_b32 v1, s4 :: v_dual_mov_b32 v2, s5
	flat_load_b32 v10, v[1:2]
	v_cndmask_b32_e64 v1, 0, 1, s6
	v_mov_b32_e32 v11, s5
	s_and_not1_b32 vcc_lo, exec_lo, s6
	s_cbranch_vccnz .LBB74_2
.LBB74_16:
	v_dual_mov_b32 v2, s4 :: v_dual_mov_b32 v3, s5
	flat_load_b32 v11, v[2:3] offset:4
	v_cmp_ne_u32_e32 vcc_lo, 1, v1
	v_mov_b32_e32 v8, s2
	s_cbranch_vccnz .LBB74_3
.LBB74_17:
	v_dual_mov_b32 v2, s2 :: v_dual_mov_b32 v3, s3
	flat_load_b32 v8, v[2:3]
	v_cmp_ne_u32_e32 vcc_lo, 1, v1
	v_mov_b32_e32 v9, s3
	s_cbranch_vccz .LBB74_4
	s_branch .LBB74_5
.LBB74_18:
	s_set_inst_prefetch_distance 0x2
	v_lshlrev_b32_e32 v5, 3, v0
	s_and_b32 vcc_lo, exec_lo, s11
	ds_store_b64 v5, v[1:2]
	s_waitcnt lgkmcnt(0)
	s_barrier
	buffer_gl0_inv
	s_cbranch_vccz .LBB74_28
; %bb.19:
	s_mov_b32 s0, exec_lo
	v_cmpx_gt_u16_e32 3, v12
	s_cbranch_execz .LBB74_21
; %bb.20:
	ds_load_2addr_b64 v[13:16], v5 offset1:4
	s_waitcnt lgkmcnt(0)
	v_dual_add_f32 v3, v15, v13 :: v_dual_add_f32 v4, v16, v14
	ds_store_b64 v5, v[3:4]
.LBB74_21:
	s_or_b32 exec_lo, exec_lo, s0
	s_delay_alu instid0(SALU_CYCLE_1)
	s_mov_b32 s0, exec_lo
	s_waitcnt lgkmcnt(0)
	s_barrier
	buffer_gl0_inv
	v_cmpx_gt_u16_e32 2, v12
	s_cbranch_execz .LBB74_23
; %bb.22:
	ds_load_2addr_b64 v[13:16], v5 offset1:2
	s_waitcnt lgkmcnt(0)
	v_dual_add_f32 v3, v15, v13 :: v_dual_add_f32 v4, v16, v14
	ds_store_b64 v5, v[3:4]
.LBB74_23:
	s_or_b32 exec_lo, exec_lo, s0
	s_delay_alu instid0(SALU_CYCLE_1)
	s_mov_b32 s0, exec_lo
	s_waitcnt lgkmcnt(0)
	s_barrier
	buffer_gl0_inv
	v_cmpx_eq_u16_e32 0, v12
	s_cbranch_execz .LBB74_25
; %bb.24:
	ds_load_2addr_b64 v[12:15], v5 offset1:1
	s_waitcnt lgkmcnt(0)
	v_dual_add_f32 v3, v14, v12 :: v_dual_add_f32 v4, v15, v13
	ds_store_b64 v5, v[3:4]
.LBB74_25:
	s_or_b32 exec_lo, exec_lo, s0
	v_dual_mov_b32 v4, v2 :: v_dual_mov_b32 v3, v1
	s_mov_b32 s0, exec_lo
	s_waitcnt lgkmcnt(0)
	s_barrier
	buffer_gl0_inv
	v_cmpx_gt_u32_e32 13, v0
	s_cbranch_execz .LBB74_27
; %bb.26:
	v_mad_u32_u24 v3, v0, 48, v5
	ds_load_b64 v[3:4], v3
.LBB74_27:
	s_or_b32 exec_lo, exec_lo, s0
	s_branch .LBB74_38
.LBB74_28:
                                        ; implicit-def: $vgpr4
	s_cbranch_execz .LBB74_38
; %bb.29:
	s_mov_b32 s0, exec_lo
	v_cmpx_gt_u32_e32 39, v0
	s_cbranch_execz .LBB74_31
; %bb.30:
	ds_load_2addr_b64 v[12:15], v5 offset1:52
	s_waitcnt lgkmcnt(0)
	v_dual_add_f32 v3, v14, v12 :: v_dual_add_f32 v4, v15, v13
	ds_store_b64 v5, v[3:4]
.LBB74_31:
	s_or_b32 exec_lo, exec_lo, s0
	s_delay_alu instid0(SALU_CYCLE_1)
	s_mov_b32 s0, exec_lo
	s_waitcnt lgkmcnt(0)
	s_barrier
	buffer_gl0_inv
	v_cmpx_gt_u32_e32 26, v0
	s_cbranch_execz .LBB74_33
; %bb.32:
	ds_load_2addr_b64 v[12:15], v5 offset1:26
	s_waitcnt lgkmcnt(0)
	v_dual_add_f32 v3, v14, v12 :: v_dual_add_f32 v4, v15, v13
	ds_store_b64 v5, v[3:4]
.LBB74_33:
	s_or_b32 exec_lo, exec_lo, s0
	s_delay_alu instid0(SALU_CYCLE_1)
	s_mov_b32 s0, exec_lo
	s_waitcnt lgkmcnt(0)
	buffer_gl0_inv
	v_cmpx_lt_u32_e32 12, v0
	s_xor_b32 s0, exec_lo, s0
	s_cbranch_execz .LBB74_35
; %bb.34:
	buffer_gl0_inv
                                        ; implicit-def: $vgpr5
.LBB74_35:
	s_and_not1_saveexec_b32 s0, s0
	s_cbranch_execz .LBB74_37
; %bb.36:
	ds_load_2addr_b64 v[1:4], v5 offset1:13
	s_waitcnt lgkmcnt(0)
	v_dual_add_f32 v1, v3, v1 :: v_dual_add_f32 v2, v4, v2
	ds_store_b64 v5, v[1:2]
	s_waitcnt lgkmcnt(0)
	buffer_gl0_inv
	ds_load_b64 v[1:2], v5
.LBB74_37:
	s_or_b32 exec_lo, exec_lo, s0
	s_waitcnt lgkmcnt(0)
	v_dual_mov_b32 v4, v2 :: v_dual_mov_b32 v3, v1
.LBB74_38:
	v_cmp_gt_u32_e32 vcc_lo, 13, v0
	s_and_b32 exec_lo, exec_lo, vcc_lo
	s_cbranch_execz .LBB74_43
; %bb.39:
	s_waitcnt lgkmcnt(0)
	v_mul_f32_e64 v1, v4, -v11
	v_mul_f32_e32 v2, v4, v10
	v_cmp_eq_f32_e32 vcc_lo, 0, v8
	v_cmp_eq_f32_e64 s0, 0, v9
	s_delay_alu instid0(VALU_DEP_4) | instskip(NEXT) | instid1(VALU_DEP_4)
	v_fmac_f32_e32 v1, v10, v3
	v_fmac_f32_e32 v2, v11, v3
	s_delay_alu instid0(VALU_DEP_3) | instskip(NEXT) | instid1(SALU_CYCLE_1)
	s_and_b32 s0, vcc_lo, s0
	s_and_saveexec_b32 s1, s0
	s_delay_alu instid0(SALU_CYCLE_1)
	s_xor_b32 s0, exec_lo, s1
	s_cbranch_execz .LBB74_41
; %bb.40:
	v_mad_u64_u32 v[3:4], null, s8, 13, v[0:1]
	v_mov_b32_e32 v4, 0
                                        ; implicit-def: $vgpr0
                                        ; implicit-def: $vgpr8
                                        ; implicit-def: $vgpr9
	s_delay_alu instid0(VALU_DEP_1) | instskip(NEXT) | instid1(VALU_DEP_1)
	v_lshlrev_b64 v[3:4], 3, v[3:4]
	v_add_co_u32 v3, vcc_lo, s2, v3
	s_delay_alu instid0(VALU_DEP_2)
	v_add_co_ci_u32_e32 v4, vcc_lo, s3, v4, vcc_lo
	global_store_b64 v[3:4], v[1:2], off
                                        ; implicit-def: $vgpr1
.LBB74_41:
	s_and_not1_saveexec_b32 s0, s0
	s_cbranch_execz .LBB74_43
; %bb.42:
	v_mad_u64_u32 v[3:4], null, s8, 13, v[0:1]
	v_mov_b32_e32 v4, 0
	s_delay_alu instid0(VALU_DEP_1) | instskip(NEXT) | instid1(VALU_DEP_1)
	v_lshlrev_b64 v[3:4], 3, v[3:4]
	v_add_co_u32 v3, vcc_lo, s2, v3
	s_delay_alu instid0(VALU_DEP_2) | instskip(SKIP_4) | instid1(VALU_DEP_2)
	v_add_co_ci_u32_e32 v4, vcc_lo, s3, v4, vcc_lo
	global_load_b64 v[5:6], v[3:4], off
	s_waitcnt vmcnt(0)
	v_fmac_f32_e32 v1, v8, v5
	v_fmac_f32_e32 v2, v9, v5
	v_fma_f32 v1, -v9, v6, v1
	s_delay_alu instid0(VALU_DEP_2)
	v_fmac_f32_e32 v2, v8, v6
	global_store_b64 v[3:4], v[1:2], off
.LBB74_43:
	s_nop 0
	s_sendmsg sendmsg(MSG_DEALLOC_VGPRS)
	s_endpgm
	.section	.rodata,"a",@progbits
	.p2align	6, 0x0
	.amdhsa_kernel _ZN9rocsparseL22gebsrmvn_mxn_16_kernelILj91ELj13ELj7E21rocsparse_complex_numIfEEEvi20rocsparse_direction_NS_24const_host_device_scalarIT2_EEPKiS8_PKS5_iiSA_S6_PS5_21rocsparse_index_base_b
		.amdhsa_group_segment_fixed_size 728
		.amdhsa_private_segment_fixed_size 0
		.amdhsa_kernarg_size 80
		.amdhsa_user_sgpr_count 15
		.amdhsa_user_sgpr_dispatch_ptr 0
		.amdhsa_user_sgpr_queue_ptr 0
		.amdhsa_user_sgpr_kernarg_segment_ptr 1
		.amdhsa_user_sgpr_dispatch_id 0
		.amdhsa_user_sgpr_private_segment_size 0
		.amdhsa_wavefront_size32 1
		.amdhsa_uses_dynamic_stack 0
		.amdhsa_enable_private_segment 0
		.amdhsa_system_sgpr_workgroup_id_x 1
		.amdhsa_system_sgpr_workgroup_id_y 0
		.amdhsa_system_sgpr_workgroup_id_z 0
		.amdhsa_system_sgpr_workgroup_info 0
		.amdhsa_system_vgpr_workitem_id 0
		.amdhsa_next_free_vgpr 17
		.amdhsa_next_free_sgpr 16
		.amdhsa_reserve_vcc 1
		.amdhsa_float_round_mode_32 0
		.amdhsa_float_round_mode_16_64 0
		.amdhsa_float_denorm_mode_32 3
		.amdhsa_float_denorm_mode_16_64 3
		.amdhsa_dx10_clamp 1
		.amdhsa_ieee_mode 1
		.amdhsa_fp16_overflow 0
		.amdhsa_workgroup_processor_mode 1
		.amdhsa_memory_ordered 1
		.amdhsa_forward_progress 0
		.amdhsa_shared_vgpr_count 0
		.amdhsa_exception_fp_ieee_invalid_op 0
		.amdhsa_exception_fp_denorm_src 0
		.amdhsa_exception_fp_ieee_div_zero 0
		.amdhsa_exception_fp_ieee_overflow 0
		.amdhsa_exception_fp_ieee_underflow 0
		.amdhsa_exception_fp_ieee_inexact 0
		.amdhsa_exception_int_div_zero 0
	.end_amdhsa_kernel
	.section	.text._ZN9rocsparseL22gebsrmvn_mxn_16_kernelILj91ELj13ELj7E21rocsparse_complex_numIfEEEvi20rocsparse_direction_NS_24const_host_device_scalarIT2_EEPKiS8_PKS5_iiSA_S6_PS5_21rocsparse_index_base_b,"axG",@progbits,_ZN9rocsparseL22gebsrmvn_mxn_16_kernelILj91ELj13ELj7E21rocsparse_complex_numIfEEEvi20rocsparse_direction_NS_24const_host_device_scalarIT2_EEPKiS8_PKS5_iiSA_S6_PS5_21rocsparse_index_base_b,comdat
.Lfunc_end74:
	.size	_ZN9rocsparseL22gebsrmvn_mxn_16_kernelILj91ELj13ELj7E21rocsparse_complex_numIfEEEvi20rocsparse_direction_NS_24const_host_device_scalarIT2_EEPKiS8_PKS5_iiSA_S6_PS5_21rocsparse_index_base_b, .Lfunc_end74-_ZN9rocsparseL22gebsrmvn_mxn_16_kernelILj91ELj13ELj7E21rocsparse_complex_numIfEEEvi20rocsparse_direction_NS_24const_host_device_scalarIT2_EEPKiS8_PKS5_iiSA_S6_PS5_21rocsparse_index_base_b
                                        ; -- End function
	.section	.AMDGPU.csdata,"",@progbits
; Kernel info:
; codeLenInByte = 1536
; NumSgprs: 18
; NumVgprs: 17
; ScratchSize: 0
; MemoryBound: 0
; FloatMode: 240
; IeeeMode: 1
; LDSByteSize: 728 bytes/workgroup (compile time only)
; SGPRBlocks: 2
; VGPRBlocks: 2
; NumSGPRsForWavesPerEU: 18
; NumVGPRsForWavesPerEU: 17
; Occupancy: 16
; WaveLimiterHint : 1
; COMPUTE_PGM_RSRC2:SCRATCH_EN: 0
; COMPUTE_PGM_RSRC2:USER_SGPR: 15
; COMPUTE_PGM_RSRC2:TRAP_HANDLER: 0
; COMPUTE_PGM_RSRC2:TGID_X_EN: 1
; COMPUTE_PGM_RSRC2:TGID_Y_EN: 0
; COMPUTE_PGM_RSRC2:TGID_Z_EN: 0
; COMPUTE_PGM_RSRC2:TIDIG_COMP_CNT: 0
	.section	.text._ZN9rocsparseL22gebsrmvn_mxn_16_kernelILj104ELj13ELj8E21rocsparse_complex_numIfEEEvi20rocsparse_direction_NS_24const_host_device_scalarIT2_EEPKiS8_PKS5_iiSA_S6_PS5_21rocsparse_index_base_b,"axG",@progbits,_ZN9rocsparseL22gebsrmvn_mxn_16_kernelILj104ELj13ELj8E21rocsparse_complex_numIfEEEvi20rocsparse_direction_NS_24const_host_device_scalarIT2_EEPKiS8_PKS5_iiSA_S6_PS5_21rocsparse_index_base_b,comdat
	.globl	_ZN9rocsparseL22gebsrmvn_mxn_16_kernelILj104ELj13ELj8E21rocsparse_complex_numIfEEEvi20rocsparse_direction_NS_24const_host_device_scalarIT2_EEPKiS8_PKS5_iiSA_S6_PS5_21rocsparse_index_base_b ; -- Begin function _ZN9rocsparseL22gebsrmvn_mxn_16_kernelILj104ELj13ELj8E21rocsparse_complex_numIfEEEvi20rocsparse_direction_NS_24const_host_device_scalarIT2_EEPKiS8_PKS5_iiSA_S6_PS5_21rocsparse_index_base_b
	.p2align	8
	.type	_ZN9rocsparseL22gebsrmvn_mxn_16_kernelILj104ELj13ELj8E21rocsparse_complex_numIfEEEvi20rocsparse_direction_NS_24const_host_device_scalarIT2_EEPKiS8_PKS5_iiSA_S6_PS5_21rocsparse_index_base_b,@function
_ZN9rocsparseL22gebsrmvn_mxn_16_kernelILj104ELj13ELj8E21rocsparse_complex_numIfEEEvi20rocsparse_direction_NS_24const_host_device_scalarIT2_EEPKiS8_PKS5_iiSA_S6_PS5_21rocsparse_index_base_b: ; @_ZN9rocsparseL22gebsrmvn_mxn_16_kernelILj104ELj13ELj8E21rocsparse_complex_numIfEEEvi20rocsparse_direction_NS_24const_host_device_scalarIT2_EEPKiS8_PKS5_iiSA_S6_PS5_21rocsparse_index_base_b
; %bb.0:
	s_clause 0x2
	s_load_b64 s[10:11], s[0:1], 0x48
	s_load_b64 s[4:5], s[0:1], 0x8
	;; [unrolled: 1-line block ×3, first 2 shown]
	s_mov_b32 s8, s15
	s_waitcnt lgkmcnt(0)
	s_bitcmp1_b32 s11, 0
	v_mov_b32_e32 v9, s4
	s_cselect_b32 s6, -1, 0
	s_delay_alu instid0(SALU_CYCLE_1)
	s_and_b32 vcc_lo, exec_lo, s6
	s_xor_b32 s6, s6, -1
	s_cbranch_vccz .LBB75_15
; %bb.1:
	v_cndmask_b32_e64 v1, 0, 1, s6
	v_mov_b32_e32 v10, s5
	s_and_not1_b32 vcc_lo, exec_lo, s6
	s_cbranch_vccz .LBB75_16
.LBB75_2:
	s_delay_alu instid0(VALU_DEP_2)
	v_cmp_ne_u32_e32 vcc_lo, 1, v1
	v_mov_b32_e32 v7, s2
	s_cbranch_vccz .LBB75_17
.LBB75_3:
	v_cmp_ne_u32_e32 vcc_lo, 1, v1
	v_mov_b32_e32 v8, s3
	s_cbranch_vccnz .LBB75_5
.LBB75_4:
	v_dual_mov_b32 v1, s2 :: v_dual_mov_b32 v2, s3
	flat_load_b32 v8, v[1:2] offset:4
.LBB75_5:
	s_waitcnt vmcnt(0) lgkmcnt(0)
	v_cmp_eq_f32_e32 vcc_lo, 0, v9
	v_cmp_eq_f32_e64 s2, 0, v10
	s_delay_alu instid0(VALU_DEP_1)
	s_and_b32 s4, vcc_lo, s2
	s_mov_b32 s2, -1
	s_and_saveexec_b32 s3, s4
; %bb.6:
	v_cmp_neq_f32_e32 vcc_lo, 1.0, v7
	v_cmp_neq_f32_e64 s2, 0, v8
	s_delay_alu instid0(VALU_DEP_1) | instskip(NEXT) | instid1(SALU_CYCLE_1)
	s_or_b32 s2, vcc_lo, s2
	s_or_not1_b32 s2, s2, exec_lo
; %bb.7:
	s_or_b32 exec_lo, exec_lo, s3
	s_and_saveexec_b32 s3, s2
	s_cbranch_execz .LBB75_43
; %bb.8:
	s_clause 0x1
	s_load_b32 s4, s[0:1], 0x4
	s_load_b64 s[2:3], s[0:1], 0x10
	v_and_b32_e32 v11, 7, v0
	s_delay_alu instid0(VALU_DEP_1) | instskip(SKIP_3) | instid1(SALU_CYCLE_1)
	v_mov_b32_e32 v12, v11
	s_waitcnt lgkmcnt(0)
	s_cmp_lg_u32 s4, 1
	s_cselect_b32 s11, -1, 0
	s_and_b32 vcc_lo, exec_lo, s11
	s_cbranch_vccnz .LBB75_10
; %bb.9:
	v_mul_u32_u24_e32 v1, 0x13b2, v0
	s_delay_alu instid0(VALU_DEP_1)
	v_bfe_u32 v12, v1, 16, 3
.LBB75_10:
	s_ashr_i32 s9, s8, 31
	v_dual_mov_b32 v2, 0 :: v_dual_mov_b32 v1, 0
	s_lshl_b64 s[4:5], s[8:9], 2
	s_delay_alu instid0(SALU_CYCLE_1)
	s_add_u32 s2, s2, s4
	s_addc_u32 s3, s3, s5
	s_load_b64 s[12:13], s[2:3], 0x0
	s_load_b64 s[2:3], s[0:1], 0x40
	s_waitcnt lgkmcnt(0)
	s_cmp_ge_i32 s12, s13
	s_cbranch_scc1 .LBB75_18
; %bb.11:
	s_clause 0x1
	s_load_b128 s[4:7], s[0:1], 0x18
	s_load_b64 s[0:1], s[0:1], 0x30
	v_mad_u64_u32 v[1:2], null, 0x68, s12, v[0:1]
	v_mul_u32_u24_e32 v3, 0x277, v0
	v_mov_b32_e32 v2, 0
	s_mul_i32 s9, s10, 0x68
	v_mov_b32_e32 v4, 0
	s_sub_i32 s12, s12, s10
	v_lshrrev_b32_e32 v13, 16, v3
	v_subrev_nc_u32_e32 v3, s9, v1
	v_mov_b32_e32 v1, v2
	s_sub_i32 s9, s13, s10
	s_set_inst_prefetch_distance 0x1
	s_branch .LBB75_13
	.p2align	6
.LBB75_12:                              ;   in Loop: Header=BB75_13 Depth=1
	s_or_b32 exec_lo, exec_lo, s13
	v_add_nc_u32_e32 v3, 0x68, v3
	s_add_i32 s12, s12, 1
	s_delay_alu instid0(SALU_CYCLE_1)
	s_cmp_ge_i32 s12, s9
	s_cbranch_scc1 .LBB75_18
.LBB75_13:                              ; =>This Inner Loop Header: Depth=1
	v_add_nc_u32_e32 v5, s12, v13
	s_mov_b32 s13, exec_lo
	s_delay_alu instid0(VALU_DEP_1)
	v_cmpx_gt_i32_e64 s9, v5
	s_cbranch_execz .LBB75_12
; %bb.14:                               ;   in Loop: Header=BB75_13 Depth=1
	v_ashrrev_i32_e32 v6, 31, v5
	v_lshlrev_b64 v[14:15], 3, v[3:4]
	s_delay_alu instid0(VALU_DEP_2) | instskip(SKIP_1) | instid1(VALU_DEP_1)
	v_lshlrev_b64 v[5:6], 2, v[5:6]
	s_waitcnt lgkmcnt(0)
	v_add_co_u32 v5, vcc_lo, s4, v5
	s_delay_alu instid0(VALU_DEP_2) | instskip(NEXT) | instid1(VALU_DEP_4)
	v_add_co_ci_u32_e32 v6, vcc_lo, s5, v6, vcc_lo
	v_add_co_u32 v14, vcc_lo, s6, v14
	v_add_co_ci_u32_e32 v15, vcc_lo, s7, v15, vcc_lo
	global_load_b32 v5, v[5:6], off
	s_waitcnt vmcnt(0)
	v_subrev_nc_u32_e32 v5, s10, v5
	s_delay_alu instid0(VALU_DEP_1) | instskip(NEXT) | instid1(VALU_DEP_1)
	v_lshl_or_b32 v5, v5, 3, v12
	v_ashrrev_i32_e32 v6, 31, v5
	s_delay_alu instid0(VALU_DEP_1) | instskip(NEXT) | instid1(VALU_DEP_1)
	v_lshlrev_b64 v[5:6], 3, v[5:6]
	v_add_co_u32 v5, vcc_lo, s0, v5
	s_delay_alu instid0(VALU_DEP_2)
	v_add_co_ci_u32_e32 v6, vcc_lo, s1, v6, vcc_lo
	global_load_b64 v[14:15], v[14:15], off
	global_load_b64 v[5:6], v[5:6], off
	s_waitcnt vmcnt(0)
	v_fmac_f32_e32 v1, v14, v5
	v_fmac_f32_e32 v2, v15, v5
	s_delay_alu instid0(VALU_DEP_2) | instskip(NEXT) | instid1(VALU_DEP_2)
	v_fma_f32 v1, -v15, v6, v1
	v_fmac_f32_e32 v2, v14, v6
	s_branch .LBB75_12
.LBB75_15:
	v_dual_mov_b32 v1, s4 :: v_dual_mov_b32 v2, s5
	flat_load_b32 v9, v[1:2]
	v_cndmask_b32_e64 v1, 0, 1, s6
	v_mov_b32_e32 v10, s5
	s_and_not1_b32 vcc_lo, exec_lo, s6
	s_cbranch_vccnz .LBB75_2
.LBB75_16:
	v_dual_mov_b32 v2, s4 :: v_dual_mov_b32 v3, s5
	flat_load_b32 v10, v[2:3] offset:4
	v_cmp_ne_u32_e32 vcc_lo, 1, v1
	v_mov_b32_e32 v7, s2
	s_cbranch_vccnz .LBB75_3
.LBB75_17:
	v_dual_mov_b32 v2, s2 :: v_dual_mov_b32 v3, s3
	flat_load_b32 v7, v[2:3]
	v_cmp_ne_u32_e32 vcc_lo, 1, v1
	v_mov_b32_e32 v8, s3
	s_cbranch_vccz .LBB75_4
	s_branch .LBB75_5
.LBB75_18:
	s_set_inst_prefetch_distance 0x2
	v_lshlrev_b32_e32 v5, 3, v0
	s_and_b32 vcc_lo, exec_lo, s11
	ds_store_b64 v5, v[1:2]
	s_waitcnt lgkmcnt(0)
	s_barrier
	buffer_gl0_inv
	s_cbranch_vccz .LBB75_28
; %bb.19:
	s_mov_b32 s0, exec_lo
	v_cmpx_gt_u32_e32 4, v11
	s_cbranch_execz .LBB75_21
; %bb.20:
	ds_load_2addr_b64 v[12:15], v5 offset1:4
	s_waitcnt lgkmcnt(0)
	v_dual_add_f32 v3, v14, v12 :: v_dual_add_f32 v4, v15, v13
	ds_store_b64 v5, v[3:4]
.LBB75_21:
	s_or_b32 exec_lo, exec_lo, s0
	s_delay_alu instid0(SALU_CYCLE_1)
	s_mov_b32 s0, exec_lo
	s_waitcnt lgkmcnt(0)
	s_barrier
	buffer_gl0_inv
	v_cmpx_gt_u32_e32 2, v11
	s_cbranch_execz .LBB75_23
; %bb.22:
	ds_load_2addr_b64 v[12:15], v5 offset1:2
	s_waitcnt lgkmcnt(0)
	v_dual_add_f32 v3, v14, v12 :: v_dual_add_f32 v4, v15, v13
	ds_store_b64 v5, v[3:4]
.LBB75_23:
	s_or_b32 exec_lo, exec_lo, s0
	s_delay_alu instid0(SALU_CYCLE_1)
	s_mov_b32 s0, exec_lo
	s_waitcnt lgkmcnt(0)
	s_barrier
	buffer_gl0_inv
	v_cmpx_eq_u32_e32 0, v11
	s_cbranch_execz .LBB75_25
; %bb.24:
	ds_load_2addr_b64 v[11:14], v5 offset1:1
	s_waitcnt lgkmcnt(0)
	v_dual_add_f32 v3, v13, v11 :: v_dual_add_f32 v4, v14, v12
	ds_store_b64 v5, v[3:4]
.LBB75_25:
	s_or_b32 exec_lo, exec_lo, s0
	v_dual_mov_b32 v4, v2 :: v_dual_mov_b32 v3, v1
	s_mov_b32 s0, exec_lo
	s_waitcnt lgkmcnt(0)
	s_barrier
	buffer_gl0_inv
	v_cmpx_gt_u32_e32 13, v0
	s_cbranch_execz .LBB75_27
; %bb.26:
	v_mad_u32_u24 v3, v0, 56, v5
	ds_load_b64 v[3:4], v3
.LBB75_27:
	s_or_b32 exec_lo, exec_lo, s0
	s_branch .LBB75_38
.LBB75_28:
                                        ; implicit-def: $vgpr4
	s_cbranch_execz .LBB75_38
; %bb.29:
	s_mov_b32 s0, exec_lo
	v_cmpx_gt_u32_e32 52, v0
	s_cbranch_execz .LBB75_31
; %bb.30:
	ds_load_2addr_b64 v[11:14], v5 offset1:52
	s_waitcnt lgkmcnt(0)
	v_dual_add_f32 v3, v13, v11 :: v_dual_add_f32 v4, v14, v12
	ds_store_b64 v5, v[3:4]
.LBB75_31:
	s_or_b32 exec_lo, exec_lo, s0
	s_delay_alu instid0(SALU_CYCLE_1)
	s_mov_b32 s0, exec_lo
	s_waitcnt lgkmcnt(0)
	s_barrier
	buffer_gl0_inv
	v_cmpx_gt_u32_e32 26, v0
	s_cbranch_execz .LBB75_33
; %bb.32:
	ds_load_2addr_b64 v[11:14], v5 offset1:26
	s_waitcnt lgkmcnt(0)
	v_dual_add_f32 v3, v13, v11 :: v_dual_add_f32 v4, v14, v12
	ds_store_b64 v5, v[3:4]
.LBB75_33:
	s_or_b32 exec_lo, exec_lo, s0
	s_delay_alu instid0(SALU_CYCLE_1)
	s_mov_b32 s0, exec_lo
	s_waitcnt lgkmcnt(0)
	buffer_gl0_inv
	v_cmpx_lt_u32_e32 12, v0
	s_xor_b32 s0, exec_lo, s0
	s_cbranch_execz .LBB75_35
; %bb.34:
	buffer_gl0_inv
                                        ; implicit-def: $vgpr5
.LBB75_35:
	s_and_not1_saveexec_b32 s0, s0
	s_cbranch_execz .LBB75_37
; %bb.36:
	ds_load_2addr_b64 v[1:4], v5 offset1:13
	s_waitcnt lgkmcnt(0)
	v_dual_add_f32 v1, v3, v1 :: v_dual_add_f32 v2, v4, v2
	ds_store_b64 v5, v[1:2]
	s_waitcnt lgkmcnt(0)
	buffer_gl0_inv
	ds_load_b64 v[1:2], v5
.LBB75_37:
	s_or_b32 exec_lo, exec_lo, s0
	s_waitcnt lgkmcnt(0)
	v_dual_mov_b32 v4, v2 :: v_dual_mov_b32 v3, v1
.LBB75_38:
	v_cmp_gt_u32_e32 vcc_lo, 13, v0
	s_and_b32 exec_lo, exec_lo, vcc_lo
	s_cbranch_execz .LBB75_43
; %bb.39:
	s_waitcnt lgkmcnt(0)
	v_mul_f32_e64 v1, v4, -v10
	v_mul_f32_e32 v2, v4, v9
	v_cmp_eq_f32_e32 vcc_lo, 0, v7
	v_cmp_eq_f32_e64 s0, 0, v8
	s_delay_alu instid0(VALU_DEP_4) | instskip(NEXT) | instid1(VALU_DEP_4)
	v_fmac_f32_e32 v1, v9, v3
	v_fmac_f32_e32 v2, v10, v3
	s_delay_alu instid0(VALU_DEP_3) | instskip(NEXT) | instid1(SALU_CYCLE_1)
	s_and_b32 s0, vcc_lo, s0
	s_and_saveexec_b32 s1, s0
	s_delay_alu instid0(SALU_CYCLE_1)
	s_xor_b32 s0, exec_lo, s1
	s_cbranch_execz .LBB75_41
; %bb.40:
	v_mad_u64_u32 v[3:4], null, s8, 13, v[0:1]
	v_mov_b32_e32 v4, 0
                                        ; implicit-def: $vgpr0
                                        ; implicit-def: $vgpr7
                                        ; implicit-def: $vgpr8
	s_delay_alu instid0(VALU_DEP_1) | instskip(NEXT) | instid1(VALU_DEP_1)
	v_lshlrev_b64 v[3:4], 3, v[3:4]
	v_add_co_u32 v3, vcc_lo, s2, v3
	s_delay_alu instid0(VALU_DEP_2)
	v_add_co_ci_u32_e32 v4, vcc_lo, s3, v4, vcc_lo
	global_store_b64 v[3:4], v[1:2], off
                                        ; implicit-def: $vgpr1
.LBB75_41:
	s_and_not1_saveexec_b32 s0, s0
	s_cbranch_execz .LBB75_43
; %bb.42:
	v_mad_u64_u32 v[3:4], null, s8, 13, v[0:1]
	v_mov_b32_e32 v4, 0
	s_delay_alu instid0(VALU_DEP_1) | instskip(NEXT) | instid1(VALU_DEP_1)
	v_lshlrev_b64 v[3:4], 3, v[3:4]
	v_add_co_u32 v3, vcc_lo, s2, v3
	s_delay_alu instid0(VALU_DEP_2) | instskip(SKIP_4) | instid1(VALU_DEP_2)
	v_add_co_ci_u32_e32 v4, vcc_lo, s3, v4, vcc_lo
	global_load_b64 v[5:6], v[3:4], off
	s_waitcnt vmcnt(0)
	v_fmac_f32_e32 v1, v7, v5
	v_fmac_f32_e32 v2, v8, v5
	v_fma_f32 v1, -v8, v6, v1
	s_delay_alu instid0(VALU_DEP_2)
	v_fmac_f32_e32 v2, v7, v6
	global_store_b64 v[3:4], v[1:2], off
.LBB75_43:
	s_nop 0
	s_sendmsg sendmsg(MSG_DEALLOC_VGPRS)
	s_endpgm
	.section	.rodata,"a",@progbits
	.p2align	6, 0x0
	.amdhsa_kernel _ZN9rocsparseL22gebsrmvn_mxn_16_kernelILj104ELj13ELj8E21rocsparse_complex_numIfEEEvi20rocsparse_direction_NS_24const_host_device_scalarIT2_EEPKiS8_PKS5_iiSA_S6_PS5_21rocsparse_index_base_b
		.amdhsa_group_segment_fixed_size 832
		.amdhsa_private_segment_fixed_size 0
		.amdhsa_kernarg_size 80
		.amdhsa_user_sgpr_count 15
		.amdhsa_user_sgpr_dispatch_ptr 0
		.amdhsa_user_sgpr_queue_ptr 0
		.amdhsa_user_sgpr_kernarg_segment_ptr 1
		.amdhsa_user_sgpr_dispatch_id 0
		.amdhsa_user_sgpr_private_segment_size 0
		.amdhsa_wavefront_size32 1
		.amdhsa_uses_dynamic_stack 0
		.amdhsa_enable_private_segment 0
		.amdhsa_system_sgpr_workgroup_id_x 1
		.amdhsa_system_sgpr_workgroup_id_y 0
		.amdhsa_system_sgpr_workgroup_id_z 0
		.amdhsa_system_sgpr_workgroup_info 0
		.amdhsa_system_vgpr_workitem_id 0
		.amdhsa_next_free_vgpr 16
		.amdhsa_next_free_sgpr 16
		.amdhsa_reserve_vcc 1
		.amdhsa_float_round_mode_32 0
		.amdhsa_float_round_mode_16_64 0
		.amdhsa_float_denorm_mode_32 3
		.amdhsa_float_denorm_mode_16_64 3
		.amdhsa_dx10_clamp 1
		.amdhsa_ieee_mode 1
		.amdhsa_fp16_overflow 0
		.amdhsa_workgroup_processor_mode 1
		.amdhsa_memory_ordered 1
		.amdhsa_forward_progress 0
		.amdhsa_shared_vgpr_count 0
		.amdhsa_exception_fp_ieee_invalid_op 0
		.amdhsa_exception_fp_denorm_src 0
		.amdhsa_exception_fp_ieee_div_zero 0
		.amdhsa_exception_fp_ieee_overflow 0
		.amdhsa_exception_fp_ieee_underflow 0
		.amdhsa_exception_fp_ieee_inexact 0
		.amdhsa_exception_int_div_zero 0
	.end_amdhsa_kernel
	.section	.text._ZN9rocsparseL22gebsrmvn_mxn_16_kernelILj104ELj13ELj8E21rocsparse_complex_numIfEEEvi20rocsparse_direction_NS_24const_host_device_scalarIT2_EEPKiS8_PKS5_iiSA_S6_PS5_21rocsparse_index_base_b,"axG",@progbits,_ZN9rocsparseL22gebsrmvn_mxn_16_kernelILj104ELj13ELj8E21rocsparse_complex_numIfEEEvi20rocsparse_direction_NS_24const_host_device_scalarIT2_EEPKiS8_PKS5_iiSA_S6_PS5_21rocsparse_index_base_b,comdat
.Lfunc_end75:
	.size	_ZN9rocsparseL22gebsrmvn_mxn_16_kernelILj104ELj13ELj8E21rocsparse_complex_numIfEEEvi20rocsparse_direction_NS_24const_host_device_scalarIT2_EEPKiS8_PKS5_iiSA_S6_PS5_21rocsparse_index_base_b, .Lfunc_end75-_ZN9rocsparseL22gebsrmvn_mxn_16_kernelILj104ELj13ELj8E21rocsparse_complex_numIfEEEvi20rocsparse_direction_NS_24const_host_device_scalarIT2_EEPKiS8_PKS5_iiSA_S6_PS5_21rocsparse_index_base_b
                                        ; -- End function
	.section	.AMDGPU.csdata,"",@progbits
; Kernel info:
; codeLenInByte = 1444
; NumSgprs: 18
; NumVgprs: 16
; ScratchSize: 0
; MemoryBound: 0
; FloatMode: 240
; IeeeMode: 1
; LDSByteSize: 832 bytes/workgroup (compile time only)
; SGPRBlocks: 2
; VGPRBlocks: 1
; NumSGPRsForWavesPerEU: 18
; NumVGPRsForWavesPerEU: 16
; Occupancy: 16
; WaveLimiterHint : 1
; COMPUTE_PGM_RSRC2:SCRATCH_EN: 0
; COMPUTE_PGM_RSRC2:USER_SGPR: 15
; COMPUTE_PGM_RSRC2:TRAP_HANDLER: 0
; COMPUTE_PGM_RSRC2:TGID_X_EN: 1
; COMPUTE_PGM_RSRC2:TGID_Y_EN: 0
; COMPUTE_PGM_RSRC2:TGID_Z_EN: 0
; COMPUTE_PGM_RSRC2:TIDIG_COMP_CNT: 0
	.section	.text._ZN9rocsparseL23gebsrmvn_general_kernelILj256ELj16E21rocsparse_complex_numIfEEEvi20rocsparse_direction_NS_24const_host_device_scalarIT1_EEPKiS8_PKS5_iiSA_S6_PS5_21rocsparse_index_base_b,"axG",@progbits,_ZN9rocsparseL23gebsrmvn_general_kernelILj256ELj16E21rocsparse_complex_numIfEEEvi20rocsparse_direction_NS_24const_host_device_scalarIT1_EEPKiS8_PKS5_iiSA_S6_PS5_21rocsparse_index_base_b,comdat
	.globl	_ZN9rocsparseL23gebsrmvn_general_kernelILj256ELj16E21rocsparse_complex_numIfEEEvi20rocsparse_direction_NS_24const_host_device_scalarIT1_EEPKiS8_PKS5_iiSA_S6_PS5_21rocsparse_index_base_b ; -- Begin function _ZN9rocsparseL23gebsrmvn_general_kernelILj256ELj16E21rocsparse_complex_numIfEEEvi20rocsparse_direction_NS_24const_host_device_scalarIT1_EEPKiS8_PKS5_iiSA_S6_PS5_21rocsparse_index_base_b
	.p2align	8
	.type	_ZN9rocsparseL23gebsrmvn_general_kernelILj256ELj16E21rocsparse_complex_numIfEEEvi20rocsparse_direction_NS_24const_host_device_scalarIT1_EEPKiS8_PKS5_iiSA_S6_PS5_21rocsparse_index_base_b,@function
_ZN9rocsparseL23gebsrmvn_general_kernelILj256ELj16E21rocsparse_complex_numIfEEEvi20rocsparse_direction_NS_24const_host_device_scalarIT1_EEPKiS8_PKS5_iiSA_S6_PS5_21rocsparse_index_base_b: ; @_ZN9rocsparseL23gebsrmvn_general_kernelILj256ELj16E21rocsparse_complex_numIfEEEvi20rocsparse_direction_NS_24const_host_device_scalarIT1_EEPKiS8_PKS5_iiSA_S6_PS5_21rocsparse_index_base_b
; %bb.0:
	s_clause 0x2
	s_load_b64 s[8:9], s[0:1], 0x48
	s_load_b64 s[4:5], s[0:1], 0x8
	;; [unrolled: 1-line block ×3, first 2 shown]
	s_mov_b32 s16, s15
	s_waitcnt lgkmcnt(0)
	s_bitcmp1_b32 s9, 0
	v_mov_b32_e32 v6, s4
	s_cselect_b32 s6, -1, 0
	s_delay_alu instid0(SALU_CYCLE_1)
	s_and_b32 vcc_lo, exec_lo, s6
	s_xor_b32 s6, s6, -1
	s_cbranch_vccz .LBB76_28
; %bb.1:
	v_cndmask_b32_e64 v1, 0, 1, s6
	v_mov_b32_e32 v7, s5
	s_and_not1_b32 vcc_lo, exec_lo, s6
	s_cbranch_vccz .LBB76_29
.LBB76_2:
	s_delay_alu instid0(VALU_DEP_2)
	v_cmp_ne_u32_e32 vcc_lo, 1, v1
	v_mov_b32_e32 v8, s2
	s_cbranch_vccz .LBB76_30
.LBB76_3:
	v_cmp_ne_u32_e32 vcc_lo, 1, v1
	v_mov_b32_e32 v9, s3
	s_cbranch_vccnz .LBB76_5
.LBB76_4:
	v_dual_mov_b32 v1, s2 :: v_dual_mov_b32 v2, s3
	flat_load_b32 v9, v[1:2] offset:4
.LBB76_5:
	s_waitcnt vmcnt(0) lgkmcnt(0)
	v_cmp_eq_f32_e32 vcc_lo, 0, v6
	v_cmp_eq_f32_e64 s2, 0, v7
	s_delay_alu instid0(VALU_DEP_1)
	s_and_b32 s4, vcc_lo, s2
	s_mov_b32 s2, -1
	s_and_saveexec_b32 s3, s4
; %bb.6:
	v_cmp_neq_f32_e32 vcc_lo, 1.0, v8
	v_cmp_neq_f32_e64 s2, 0, v9
	s_delay_alu instid0(VALU_DEP_1) | instskip(NEXT) | instid1(SALU_CYCLE_1)
	s_or_b32 s2, vcc_lo, s2
	s_or_not1_b32 s2, s2, exec_lo
; %bb.7:
	s_or_b32 exec_lo, exec_lo, s3
	s_and_saveexec_b32 s3, s2
	s_cbranch_execz .LBB76_27
; %bb.8:
	s_load_b64 s[10:11], s[0:1], 0x28
	v_lshrrev_b32_e32 v1, 4, v0
	s_waitcnt lgkmcnt(0)
	s_delay_alu instid0(VALU_DEP_1)
	v_cmp_gt_i32_e32 vcc_lo, s10, v1
	s_and_b32 exec_lo, exec_lo, vcc_lo
	s_cbranch_execz .LBB76_27
; %bb.9:
	s_clause 0x1
	s_load_b128 s[4:7], s[0:1], 0x10
	s_load_b32 s20, s[0:1], 0x4
	v_mbcnt_lo_u32_b32 v2, -1, 0
	s_ashr_i32 s17, s16, 31
	s_mov_b32 s9, 0
	s_lshl_b64 s[2:3], s[16:17], 2
	s_mul_i32 s16, s16, s10
	v_xor_b32_e32 v3, 8, v2
	v_xor_b32_e32 v4, 4, v2
	;; [unrolled: 1-line block ×4, first 2 shown]
	s_mul_i32 s23, s11, s10
	v_cmp_gt_i32_e32 vcc_lo, 32, v3
	v_dual_cndmask_b32 v11, v2, v3 :: v_dual_and_b32 v0, 15, v0
	v_cmp_gt_i32_e32 vcc_lo, 32, v4
	s_waitcnt lgkmcnt(0)
	s_add_u32 s2, s4, s2
	s_addc_u32 s3, s5, s3
	v_cndmask_b32_e32 v4, v2, v4, vcc_lo
	s_load_b64 s[2:3], s[2:3], 0x0
	v_cmp_gt_i32_e32 vcc_lo, 32, v5
	s_clause 0x2
	s_load_b64 s[4:5], s[0:1], 0x20
	s_load_b64 s[12:13], s[0:1], 0x30
	;; [unrolled: 1-line block ×3, first 2 shown]
	v_cmp_gt_i32_e64 s0, s11, v0
	v_cmp_eq_u32_e64 s1, 15, v0
	v_cndmask_b32_e32 v5, v2, v5, vcc_lo
	v_cmp_gt_i32_e32 vcc_lo, 32, v10
	v_cndmask_b32_e32 v13, v2, v10, vcc_lo
	v_cmp_eq_f32_e32 vcc_lo, 0, v8
	v_lshlrev_b32_e32 v10, 2, v11
	v_lshlrev_b32_e32 v12, 2, v5
	s_delay_alu instid0(VALU_DEP_4)
	v_lshlrev_b32_e32 v13, 2, v13
	v_lshlrev_b32_e32 v11, 2, v4
	s_waitcnt lgkmcnt(0)
	s_sub_i32 s17, s2, s8
	s_sub_i32 s18, s3, s8
	v_mad_u64_u32 v[2:3], null, s10, s17, v[1:2]
	s_cmp_lt_i32 s2, s3
	v_cmp_eq_f32_e64 s2, 0, v9
	s_cselect_b32 s19, -1, 0
	s_cmp_lg_u32 s20, 0
	s_cselect_b32 s20, -1, 0
	s_delay_alu instid0(VALU_DEP_2)
	v_mul_lo_u32 v14, s11, v2
	s_and_b32 s21, vcc_lo, s2
	s_lshl_b32 s22, s11, 4
	s_branch .LBB76_11
.LBB76_10:                              ;   in Loop: Header=BB76_11 Depth=1
	s_or_b32 exec_lo, exec_lo, s2
	v_add_nc_u32_e32 v1, 16, v1
	v_add_nc_u32_e32 v14, s22, v14
	s_delay_alu instid0(VALU_DEP_2) | instskip(SKIP_1) | instid1(SALU_CYCLE_1)
	v_cmp_le_i32_e32 vcc_lo, s10, v1
	s_or_b32 s9, vcc_lo, s9
	s_and_not1_b32 exec_lo, exec_lo, s9
	s_cbranch_execz .LBB76_27
.LBB76_11:                              ; =>This Loop Header: Depth=1
                                        ;     Child Loop BB76_15 Depth 2
                                        ;       Child Loop BB76_18 Depth 3
	s_waitcnt lgkmcnt(0)
	v_dual_mov_b32 v4, 0 :: v_dual_mov_b32 v5, 0
	s_and_not1_b32 vcc_lo, exec_lo, s19
	s_cbranch_vccnz .LBB76_22
; %bb.12:                               ;   in Loop: Header=BB76_11 Depth=1
	v_dual_mov_b32 v4, 0 :: v_dual_mov_b32 v15, v14
	v_mov_b32_e32 v5, 0
	s_mov_b32 s2, s17
	s_branch .LBB76_15
.LBB76_13:                              ;   in Loop: Header=BB76_15 Depth=2
	s_set_inst_prefetch_distance 0x2
	s_or_b32 exec_lo, exec_lo, s25
.LBB76_14:                              ;   in Loop: Header=BB76_15 Depth=2
	s_delay_alu instid0(SALU_CYCLE_1) | instskip(SKIP_2) | instid1(SALU_CYCLE_1)
	s_or_b32 exec_lo, exec_lo, s24
	v_add_nc_u32_e32 v15, s23, v15
	s_add_i32 s2, s2, 1
	s_cmp_ge_i32 s2, s18
	s_cbranch_scc1 .LBB76_22
.LBB76_15:                              ;   Parent Loop BB76_11 Depth=1
                                        ; =>  This Loop Header: Depth=2
                                        ;       Child Loop BB76_18 Depth 3
	s_and_saveexec_b32 s24, s0
	s_cbranch_execz .LBB76_14
; %bb.16:                               ;   in Loop: Header=BB76_15 Depth=2
	s_ashr_i32 s3, s2, 31
	v_mov_b32_e32 v16, v0
	s_lshl_b64 s[26:27], s[2:3], 2
	s_mov_b32 s25, 0
	s_add_u32 s26, s6, s26
	s_addc_u32 s27, s7, s27
	s_load_b32 s3, s[26:27], 0x0
	s_waitcnt lgkmcnt(0)
	s_sub_i32 s26, s3, s8
	s_mul_i32 s3, s2, s11
	s_mul_i32 s26, s26, s11
	s_set_inst_prefetch_distance 0x1
	s_branch .LBB76_18
	.p2align	6
.LBB76_17:                              ;   in Loop: Header=BB76_18 Depth=3
	v_add_nc_u32_e32 v17, s26, v16
	s_delay_alu instid0(VALU_DEP_2) | instskip(NEXT) | instid1(VALU_DEP_2)
	v_ashrrev_i32_e32 v3, 31, v2
	v_ashrrev_i32_e32 v18, 31, v17
	s_delay_alu instid0(VALU_DEP_2) | instskip(NEXT) | instid1(VALU_DEP_2)
	v_lshlrev_b64 v[2:3], 3, v[2:3]
	v_lshlrev_b64 v[17:18], 3, v[17:18]
	s_delay_alu instid0(VALU_DEP_2) | instskip(NEXT) | instid1(VALU_DEP_3)
	v_add_co_u32 v2, vcc_lo, s4, v2
	v_add_co_ci_u32_e32 v3, vcc_lo, s5, v3, vcc_lo
	s_delay_alu instid0(VALU_DEP_3) | instskip(NEXT) | instid1(VALU_DEP_4)
	v_add_co_u32 v17, vcc_lo, s12, v17
	v_add_co_ci_u32_e32 v18, vcc_lo, s13, v18, vcc_lo
	global_load_b64 v[2:3], v[2:3], off
	global_load_b64 v[17:18], v[17:18], off
	s_waitcnt vmcnt(0)
	v_dual_fmac_f32 v5, v2, v17 :: v_dual_add_nc_u32 v16, 16, v16
	v_fmac_f32_e32 v4, v3, v17
	s_delay_alu instid0(VALU_DEP_2) | instskip(NEXT) | instid1(VALU_DEP_3)
	v_cmp_le_i32_e32 vcc_lo, s11, v16
	v_fma_f32 v5, -v3, v18, v5
	s_delay_alu instid0(VALU_DEP_3) | instskip(SKIP_1) | instid1(SALU_CYCLE_1)
	v_fmac_f32_e32 v4, v2, v18
	s_or_b32 s25, vcc_lo, s25
	s_and_not1_b32 exec_lo, exec_lo, s25
	s_cbranch_execz .LBB76_13
.LBB76_18:                              ;   Parent Loop BB76_11 Depth=1
                                        ;     Parent Loop BB76_15 Depth=2
                                        ; =>    This Inner Loop Header: Depth=3
	s_and_b32 vcc_lo, exec_lo, s20
	s_cbranch_vccz .LBB76_20
; %bb.19:                               ;   in Loop: Header=BB76_18 Depth=3
	v_add_nc_u32_e32 v17, s3, v16
	s_delay_alu instid0(VALU_DEP_1)
	v_mad_u64_u32 v[2:3], null, v17, s10, v[1:2]
	s_cbranch_execnz .LBB76_17
	s_branch .LBB76_21
.LBB76_20:                              ;   in Loop: Header=BB76_18 Depth=3
                                        ; implicit-def: $vgpr2
.LBB76_21:                              ;   in Loop: Header=BB76_18 Depth=3
	v_add_nc_u32_e32 v2, v15, v16
	s_branch .LBB76_17
.LBB76_22:                              ;   in Loop: Header=BB76_11 Depth=1
	ds_bpermute_b32 v2, v10, v5
	ds_bpermute_b32 v3, v10, v4
	s_waitcnt lgkmcnt(0)
	v_dual_add_f32 v2, v5, v2 :: v_dual_add_f32 v3, v4, v3
	ds_bpermute_b32 v4, v11, v2
	ds_bpermute_b32 v5, v11, v3
	s_waitcnt lgkmcnt(0)
	v_dual_add_f32 v2, v2, v4 :: v_dual_add_f32 v3, v3, v5
	ds_bpermute_b32 v4, v12, v2
	ds_bpermute_b32 v5, v12, v3
	s_waitcnt lgkmcnt(1)
	v_add_f32_e32 v2, v2, v4
	s_waitcnt lgkmcnt(0)
	v_add_f32_e32 v4, v3, v5
	ds_bpermute_b32 v3, v13, v2
	ds_bpermute_b32 v5, v13, v4
	s_and_saveexec_b32 s2, s1
	s_cbranch_execz .LBB76_10
; %bb.23:                               ;   in Loop: Header=BB76_11 Depth=1
	s_waitcnt lgkmcnt(0)
	v_dual_add_f32 v4, v4, v5 :: v_dual_add_f32 v5, v2, v3
	s_delay_alu instid0(VALU_DEP_1) | instskip(SKIP_1) | instid1(VALU_DEP_2)
	v_mul_f32_e64 v2, v4, -v7
	v_dual_mul_f32 v3, v4, v6 :: v_dual_add_nc_u32 v4, s16, v1
	v_fmac_f32_e32 v2, v6, v5
	s_delay_alu instid0(VALU_DEP_2) | instskip(NEXT) | instid1(VALU_DEP_3)
	v_fmac_f32_e32 v3, v7, v5
	v_ashrrev_i32_e32 v5, 31, v4
	s_and_saveexec_b32 s3, s21
	s_delay_alu instid0(SALU_CYCLE_1)
	s_xor_b32 s3, exec_lo, s3
	s_cbranch_execz .LBB76_25
; %bb.24:                               ;   in Loop: Header=BB76_11 Depth=1
	s_delay_alu instid0(VALU_DEP_1) | instskip(NEXT) | instid1(VALU_DEP_1)
	v_lshlrev_b64 v[4:5], 3, v[4:5]
	v_add_co_u32 v4, vcc_lo, s14, v4
	s_delay_alu instid0(VALU_DEP_2)
	v_add_co_ci_u32_e32 v5, vcc_lo, s15, v5, vcc_lo
	global_store_b64 v[4:5], v[2:3], off
                                        ; implicit-def: $vgpr4
                                        ; implicit-def: $vgpr2
.LBB76_25:                              ;   in Loop: Header=BB76_11 Depth=1
	s_and_not1_saveexec_b32 s3, s3
	s_cbranch_execz .LBB76_10
; %bb.26:                               ;   in Loop: Header=BB76_11 Depth=1
	v_lshlrev_b64 v[4:5], 3, v[4:5]
	s_delay_alu instid0(VALU_DEP_1) | instskip(NEXT) | instid1(VALU_DEP_2)
	v_add_co_u32 v4, vcc_lo, s14, v4
	v_add_co_ci_u32_e32 v5, vcc_lo, s15, v5, vcc_lo
	global_load_b64 v[15:16], v[4:5], off
	s_waitcnt vmcnt(0)
	v_fmac_f32_e32 v2, v8, v15
	v_fmac_f32_e32 v3, v9, v15
	s_delay_alu instid0(VALU_DEP_2) | instskip(NEXT) | instid1(VALU_DEP_2)
	v_fma_f32 v2, -v9, v16, v2
	v_fmac_f32_e32 v3, v8, v16
	global_store_b64 v[4:5], v[2:3], off
	s_branch .LBB76_10
.LBB76_27:
	s_nop 0
	s_sendmsg sendmsg(MSG_DEALLOC_VGPRS)
	s_endpgm
.LBB76_28:
	v_dual_mov_b32 v1, s4 :: v_dual_mov_b32 v2, s5
	flat_load_b32 v6, v[1:2]
	v_cndmask_b32_e64 v1, 0, 1, s6
	v_mov_b32_e32 v7, s5
	s_and_not1_b32 vcc_lo, exec_lo, s6
	s_cbranch_vccnz .LBB76_2
.LBB76_29:
	v_dual_mov_b32 v2, s4 :: v_dual_mov_b32 v3, s5
	flat_load_b32 v7, v[2:3] offset:4
	v_cmp_ne_u32_e32 vcc_lo, 1, v1
	v_mov_b32_e32 v8, s2
	s_cbranch_vccnz .LBB76_3
.LBB76_30:
	v_dual_mov_b32 v2, s2 :: v_dual_mov_b32 v3, s3
	flat_load_b32 v8, v[2:3]
	v_cmp_ne_u32_e32 vcc_lo, 1, v1
	v_mov_b32_e32 v9, s3
	s_cbranch_vccz .LBB76_4
	s_branch .LBB76_5
	.section	.rodata,"a",@progbits
	.p2align	6, 0x0
	.amdhsa_kernel _ZN9rocsparseL23gebsrmvn_general_kernelILj256ELj16E21rocsparse_complex_numIfEEEvi20rocsparse_direction_NS_24const_host_device_scalarIT1_EEPKiS8_PKS5_iiSA_S6_PS5_21rocsparse_index_base_b
		.amdhsa_group_segment_fixed_size 0
		.amdhsa_private_segment_fixed_size 0
		.amdhsa_kernarg_size 80
		.amdhsa_user_sgpr_count 15
		.amdhsa_user_sgpr_dispatch_ptr 0
		.amdhsa_user_sgpr_queue_ptr 0
		.amdhsa_user_sgpr_kernarg_segment_ptr 1
		.amdhsa_user_sgpr_dispatch_id 0
		.amdhsa_user_sgpr_private_segment_size 0
		.amdhsa_wavefront_size32 1
		.amdhsa_uses_dynamic_stack 0
		.amdhsa_enable_private_segment 0
		.amdhsa_system_sgpr_workgroup_id_x 1
		.amdhsa_system_sgpr_workgroup_id_y 0
		.amdhsa_system_sgpr_workgroup_id_z 0
		.amdhsa_system_sgpr_workgroup_info 0
		.amdhsa_system_vgpr_workitem_id 0
		.amdhsa_next_free_vgpr 19
		.amdhsa_next_free_sgpr 28
		.amdhsa_reserve_vcc 1
		.amdhsa_float_round_mode_32 0
		.amdhsa_float_round_mode_16_64 0
		.amdhsa_float_denorm_mode_32 3
		.amdhsa_float_denorm_mode_16_64 3
		.amdhsa_dx10_clamp 1
		.amdhsa_ieee_mode 1
		.amdhsa_fp16_overflow 0
		.amdhsa_workgroup_processor_mode 1
		.amdhsa_memory_ordered 1
		.amdhsa_forward_progress 0
		.amdhsa_shared_vgpr_count 0
		.amdhsa_exception_fp_ieee_invalid_op 0
		.amdhsa_exception_fp_denorm_src 0
		.amdhsa_exception_fp_ieee_div_zero 0
		.amdhsa_exception_fp_ieee_overflow 0
		.amdhsa_exception_fp_ieee_underflow 0
		.amdhsa_exception_fp_ieee_inexact 0
		.amdhsa_exception_int_div_zero 0
	.end_amdhsa_kernel
	.section	.text._ZN9rocsparseL23gebsrmvn_general_kernelILj256ELj16E21rocsparse_complex_numIfEEEvi20rocsparse_direction_NS_24const_host_device_scalarIT1_EEPKiS8_PKS5_iiSA_S6_PS5_21rocsparse_index_base_b,"axG",@progbits,_ZN9rocsparseL23gebsrmvn_general_kernelILj256ELj16E21rocsparse_complex_numIfEEEvi20rocsparse_direction_NS_24const_host_device_scalarIT1_EEPKiS8_PKS5_iiSA_S6_PS5_21rocsparse_index_base_b,comdat
.Lfunc_end76:
	.size	_ZN9rocsparseL23gebsrmvn_general_kernelILj256ELj16E21rocsparse_complex_numIfEEEvi20rocsparse_direction_NS_24const_host_device_scalarIT1_EEPKiS8_PKS5_iiSA_S6_PS5_21rocsparse_index_base_b, .Lfunc_end76-_ZN9rocsparseL23gebsrmvn_general_kernelILj256ELj16E21rocsparse_complex_numIfEEEvi20rocsparse_direction_NS_24const_host_device_scalarIT1_EEPKiS8_PKS5_iiSA_S6_PS5_21rocsparse_index_base_b
                                        ; -- End function
	.section	.AMDGPU.csdata,"",@progbits
; Kernel info:
; codeLenInByte = 1228
; NumSgprs: 30
; NumVgprs: 19
; ScratchSize: 0
; MemoryBound: 0
; FloatMode: 240
; IeeeMode: 1
; LDSByteSize: 0 bytes/workgroup (compile time only)
; SGPRBlocks: 3
; VGPRBlocks: 2
; NumSGPRsForWavesPerEU: 30
; NumVGPRsForWavesPerEU: 19
; Occupancy: 16
; WaveLimiterHint : 1
; COMPUTE_PGM_RSRC2:SCRATCH_EN: 0
; COMPUTE_PGM_RSRC2:USER_SGPR: 15
; COMPUTE_PGM_RSRC2:TRAP_HANDLER: 0
; COMPUTE_PGM_RSRC2:TGID_X_EN: 1
; COMPUTE_PGM_RSRC2:TGID_Y_EN: 0
; COMPUTE_PGM_RSRC2:TGID_Z_EN: 0
; COMPUTE_PGM_RSRC2:TIDIG_COMP_CNT: 0
	.section	.text._ZN9rocsparseL23gebsrmvn_general_kernelILj512ELj32E21rocsparse_complex_numIfEEEvi20rocsparse_direction_NS_24const_host_device_scalarIT1_EEPKiS8_PKS5_iiSA_S6_PS5_21rocsparse_index_base_b,"axG",@progbits,_ZN9rocsparseL23gebsrmvn_general_kernelILj512ELj32E21rocsparse_complex_numIfEEEvi20rocsparse_direction_NS_24const_host_device_scalarIT1_EEPKiS8_PKS5_iiSA_S6_PS5_21rocsparse_index_base_b,comdat
	.globl	_ZN9rocsparseL23gebsrmvn_general_kernelILj512ELj32E21rocsparse_complex_numIfEEEvi20rocsparse_direction_NS_24const_host_device_scalarIT1_EEPKiS8_PKS5_iiSA_S6_PS5_21rocsparse_index_base_b ; -- Begin function _ZN9rocsparseL23gebsrmvn_general_kernelILj512ELj32E21rocsparse_complex_numIfEEEvi20rocsparse_direction_NS_24const_host_device_scalarIT1_EEPKiS8_PKS5_iiSA_S6_PS5_21rocsparse_index_base_b
	.p2align	8
	.type	_ZN9rocsparseL23gebsrmvn_general_kernelILj512ELj32E21rocsparse_complex_numIfEEEvi20rocsparse_direction_NS_24const_host_device_scalarIT1_EEPKiS8_PKS5_iiSA_S6_PS5_21rocsparse_index_base_b,@function
_ZN9rocsparseL23gebsrmvn_general_kernelILj512ELj32E21rocsparse_complex_numIfEEEvi20rocsparse_direction_NS_24const_host_device_scalarIT1_EEPKiS8_PKS5_iiSA_S6_PS5_21rocsparse_index_base_b: ; @_ZN9rocsparseL23gebsrmvn_general_kernelILj512ELj32E21rocsparse_complex_numIfEEEvi20rocsparse_direction_NS_24const_host_device_scalarIT1_EEPKiS8_PKS5_iiSA_S6_PS5_21rocsparse_index_base_b
; %bb.0:
	s_clause 0x2
	s_load_b64 s[8:9], s[0:1], 0x48
	s_load_b64 s[4:5], s[0:1], 0x8
	;; [unrolled: 1-line block ×3, first 2 shown]
	s_mov_b32 s16, s15
	s_waitcnt lgkmcnt(0)
	s_bitcmp1_b32 s9, 0
	v_mov_b32_e32 v6, s4
	s_cselect_b32 s6, -1, 0
	s_delay_alu instid0(SALU_CYCLE_1)
	s_and_b32 vcc_lo, exec_lo, s6
	s_xor_b32 s6, s6, -1
	s_cbranch_vccz .LBB77_28
; %bb.1:
	v_cndmask_b32_e64 v1, 0, 1, s6
	v_mov_b32_e32 v7, s5
	s_and_not1_b32 vcc_lo, exec_lo, s6
	s_cbranch_vccz .LBB77_29
.LBB77_2:
	s_delay_alu instid0(VALU_DEP_2)
	v_cmp_ne_u32_e32 vcc_lo, 1, v1
	v_mov_b32_e32 v8, s2
	s_cbranch_vccz .LBB77_30
.LBB77_3:
	v_cmp_ne_u32_e32 vcc_lo, 1, v1
	v_mov_b32_e32 v9, s3
	s_cbranch_vccnz .LBB77_5
.LBB77_4:
	v_dual_mov_b32 v1, s2 :: v_dual_mov_b32 v2, s3
	flat_load_b32 v9, v[1:2] offset:4
.LBB77_5:
	s_waitcnt vmcnt(0) lgkmcnt(0)
	v_cmp_eq_f32_e32 vcc_lo, 0, v6
	v_cmp_eq_f32_e64 s2, 0, v7
	s_delay_alu instid0(VALU_DEP_1)
	s_and_b32 s4, vcc_lo, s2
	s_mov_b32 s2, -1
	s_and_saveexec_b32 s3, s4
; %bb.6:
	v_cmp_neq_f32_e32 vcc_lo, 1.0, v8
	v_cmp_neq_f32_e64 s2, 0, v9
	s_delay_alu instid0(VALU_DEP_1) | instskip(NEXT) | instid1(SALU_CYCLE_1)
	s_or_b32 s2, vcc_lo, s2
	s_or_not1_b32 s2, s2, exec_lo
; %bb.7:
	s_or_b32 exec_lo, exec_lo, s3
	s_and_saveexec_b32 s3, s2
	s_cbranch_execz .LBB77_27
; %bb.8:
	s_load_b64 s[10:11], s[0:1], 0x28
	v_lshrrev_b32_e32 v1, 5, v0
	s_waitcnt lgkmcnt(0)
	s_delay_alu instid0(VALU_DEP_1)
	v_cmp_gt_i32_e32 vcc_lo, s10, v1
	s_and_b32 exec_lo, exec_lo, vcc_lo
	s_cbranch_execz .LBB77_27
; %bb.9:
	s_clause 0x1
	s_load_b128 s[4:7], s[0:1], 0x10
	s_load_b32 s20, s[0:1], 0x4
	v_mbcnt_lo_u32_b32 v2, -1, 0
	s_ashr_i32 s17, s16, 31
	s_mov_b32 s9, 0
	s_lshl_b64 s[2:3], s[16:17], 2
	s_mul_i32 s16, s16, s10
	v_xor_b32_e32 v3, 16, v2
	v_xor_b32_e32 v4, 8, v2
	;; [unrolled: 1-line block ×5, first 2 shown]
	v_cmp_gt_i32_e32 vcc_lo, 32, v3
	v_and_b32_e32 v0, 31, v0
	s_mul_i32 s23, s11, s10
	v_cndmask_b32_e32 v3, v2, v3, vcc_lo
	v_cmp_gt_i32_e32 vcc_lo, 32, v4
	s_waitcnt lgkmcnt(0)
	s_add_u32 s2, s4, s2
	s_addc_u32 s3, s5, s3
	s_load_b64 s[2:3], s[2:3], 0x0
	s_clause 0x2
	s_load_b64 s[4:5], s[0:1], 0x20
	s_load_b64 s[12:13], s[0:1], 0x30
	;; [unrolled: 1-line block ×3, first 2 shown]
	v_cndmask_b32_e32 v4, v2, v4, vcc_lo
	v_cmp_gt_i32_e32 vcc_lo, 32, v5
	v_cmp_gt_i32_e64 s0, s11, v0
	v_cmp_eq_u32_e64 s1, 31, v0
	v_cndmask_b32_e32 v5, v2, v5, vcc_lo
	v_cmp_gt_i32_e32 vcc_lo, 32, v10
	v_cndmask_b32_e32 v13, v2, v10, vcc_lo
	v_cmp_gt_i32_e32 vcc_lo, 32, v11
	v_lshlrev_b32_e32 v10, 2, v3
	v_lshlrev_b32_e32 v12, 2, v5
	s_waitcnt lgkmcnt(0)
	s_sub_i32 s17, s2, s8
	v_dual_cndmask_b32 v14, v2, v11 :: v_dual_lshlrev_b32 v13, 2, v13
	v_lshlrev_b32_e32 v11, 2, v4
	v_mad_u64_u32 v[2:3], null, s10, s17, v[1:2]
	s_sub_i32 s18, s3, s8
	s_cmp_lt_i32 s2, s3
	v_cmp_eq_f32_e32 vcc_lo, 0, v8
	v_cmp_eq_f32_e64 s2, 0, v9
	v_lshlrev_b32_e32 v14, 2, v14
	s_cselect_b32 s19, -1, 0
	s_delay_alu instid0(VALU_DEP_4)
	v_mul_lo_u32 v15, s11, v2
	s_cmp_lg_u32 s20, 0
	s_cselect_b32 s20, -1, 0
	s_and_b32 s21, vcc_lo, s2
	s_lshl_b32 s22, s11, 4
	s_branch .LBB77_11
.LBB77_10:                              ;   in Loop: Header=BB77_11 Depth=1
	s_or_b32 exec_lo, exec_lo, s2
	v_add_nc_u32_e32 v1, 16, v1
	v_add_nc_u32_e32 v15, s22, v15
	s_delay_alu instid0(VALU_DEP_2) | instskip(SKIP_1) | instid1(SALU_CYCLE_1)
	v_cmp_le_i32_e32 vcc_lo, s10, v1
	s_or_b32 s9, vcc_lo, s9
	s_and_not1_b32 exec_lo, exec_lo, s9
	s_cbranch_execz .LBB77_27
.LBB77_11:                              ; =>This Loop Header: Depth=1
                                        ;     Child Loop BB77_15 Depth 2
                                        ;       Child Loop BB77_18 Depth 3
	s_waitcnt lgkmcnt(0)
	v_dual_mov_b32 v4, 0 :: v_dual_mov_b32 v5, 0
	s_and_not1_b32 vcc_lo, exec_lo, s19
	s_cbranch_vccnz .LBB77_22
; %bb.12:                               ;   in Loop: Header=BB77_11 Depth=1
	v_dual_mov_b32 v4, 0 :: v_dual_mov_b32 v5, 0
	v_mov_b32_e32 v16, v15
	s_mov_b32 s2, s17
	s_branch .LBB77_15
.LBB77_13:                              ;   in Loop: Header=BB77_15 Depth=2
	s_set_inst_prefetch_distance 0x2
	s_or_b32 exec_lo, exec_lo, s25
.LBB77_14:                              ;   in Loop: Header=BB77_15 Depth=2
	s_delay_alu instid0(SALU_CYCLE_1) | instskip(SKIP_2) | instid1(SALU_CYCLE_1)
	s_or_b32 exec_lo, exec_lo, s24
	v_add_nc_u32_e32 v16, s23, v16
	s_add_i32 s2, s2, 1
	s_cmp_ge_i32 s2, s18
	s_cbranch_scc1 .LBB77_22
.LBB77_15:                              ;   Parent Loop BB77_11 Depth=1
                                        ; =>  This Loop Header: Depth=2
                                        ;       Child Loop BB77_18 Depth 3
	s_and_saveexec_b32 s24, s0
	s_cbranch_execz .LBB77_14
; %bb.16:                               ;   in Loop: Header=BB77_15 Depth=2
	s_ashr_i32 s3, s2, 31
	v_mov_b32_e32 v17, v0
	s_lshl_b64 s[26:27], s[2:3], 2
	s_mov_b32 s25, 0
	s_add_u32 s26, s6, s26
	s_addc_u32 s27, s7, s27
	s_load_b32 s3, s[26:27], 0x0
	s_waitcnt lgkmcnt(0)
	s_sub_i32 s26, s3, s8
	s_mul_i32 s3, s2, s11
	s_mul_i32 s26, s26, s11
	s_set_inst_prefetch_distance 0x1
	s_branch .LBB77_18
	.p2align	6
.LBB77_17:                              ;   in Loop: Header=BB77_18 Depth=3
	v_add_nc_u32_e32 v18, s26, v17
	s_delay_alu instid0(VALU_DEP_2) | instskip(NEXT) | instid1(VALU_DEP_2)
	v_ashrrev_i32_e32 v3, 31, v2
	v_ashrrev_i32_e32 v19, 31, v18
	s_delay_alu instid0(VALU_DEP_2) | instskip(NEXT) | instid1(VALU_DEP_2)
	v_lshlrev_b64 v[2:3], 3, v[2:3]
	v_lshlrev_b64 v[18:19], 3, v[18:19]
	s_delay_alu instid0(VALU_DEP_2) | instskip(NEXT) | instid1(VALU_DEP_3)
	v_add_co_u32 v2, vcc_lo, s4, v2
	v_add_co_ci_u32_e32 v3, vcc_lo, s5, v3, vcc_lo
	s_delay_alu instid0(VALU_DEP_3) | instskip(NEXT) | instid1(VALU_DEP_4)
	v_add_co_u32 v18, vcc_lo, s12, v18
	v_add_co_ci_u32_e32 v19, vcc_lo, s13, v19, vcc_lo
	global_load_b64 v[2:3], v[2:3], off
	global_load_b64 v[18:19], v[18:19], off
	s_waitcnt vmcnt(0)
	v_dual_fmac_f32 v4, v3, v18 :: v_dual_add_nc_u32 v17, 32, v17
	v_fmac_f32_e32 v5, v2, v18
	s_delay_alu instid0(VALU_DEP_2) | instskip(NEXT) | instid1(VALU_DEP_3)
	v_cmp_le_i32_e32 vcc_lo, s11, v17
	v_fmac_f32_e32 v4, v2, v19
	s_delay_alu instid0(VALU_DEP_3) | instskip(SKIP_1) | instid1(SALU_CYCLE_1)
	v_fma_f32 v5, -v3, v19, v5
	s_or_b32 s25, vcc_lo, s25
	s_and_not1_b32 exec_lo, exec_lo, s25
	s_cbranch_execz .LBB77_13
.LBB77_18:                              ;   Parent Loop BB77_11 Depth=1
                                        ;     Parent Loop BB77_15 Depth=2
                                        ; =>    This Inner Loop Header: Depth=3
	s_and_b32 vcc_lo, exec_lo, s20
	s_cbranch_vccz .LBB77_20
; %bb.19:                               ;   in Loop: Header=BB77_18 Depth=3
	v_add_nc_u32_e32 v18, s3, v17
	s_delay_alu instid0(VALU_DEP_1)
	v_mad_u64_u32 v[2:3], null, v18, s10, v[1:2]
	s_cbranch_execnz .LBB77_17
	s_branch .LBB77_21
.LBB77_20:                              ;   in Loop: Header=BB77_18 Depth=3
                                        ; implicit-def: $vgpr2
.LBB77_21:                              ;   in Loop: Header=BB77_18 Depth=3
	v_add_nc_u32_e32 v2, v16, v17
	s_branch .LBB77_17
.LBB77_22:                              ;   in Loop: Header=BB77_11 Depth=1
	ds_bpermute_b32 v2, v10, v5
	ds_bpermute_b32 v3, v10, v4
	s_waitcnt lgkmcnt(0)
	v_dual_add_f32 v2, v5, v2 :: v_dual_add_f32 v3, v4, v3
	ds_bpermute_b32 v4, v11, v2
	ds_bpermute_b32 v5, v11, v3
	s_waitcnt lgkmcnt(0)
	v_dual_add_f32 v2, v2, v4 :: v_dual_add_f32 v3, v3, v5
	;; [unrolled: 4-line block ×3, first 2 shown]
	ds_bpermute_b32 v4, v13, v2
	ds_bpermute_b32 v5, v13, v3
	s_waitcnt lgkmcnt(1)
	v_add_f32_e32 v2, v2, v4
	s_waitcnt lgkmcnt(0)
	v_add_f32_e32 v4, v3, v5
	ds_bpermute_b32 v3, v14, v2
	ds_bpermute_b32 v5, v14, v4
	s_and_saveexec_b32 s2, s1
	s_cbranch_execz .LBB77_10
; %bb.23:                               ;   in Loop: Header=BB77_11 Depth=1
	s_waitcnt lgkmcnt(0)
	v_dual_add_f32 v4, v4, v5 :: v_dual_add_f32 v5, v2, v3
	s_delay_alu instid0(VALU_DEP_1) | instskip(SKIP_1) | instid1(VALU_DEP_2)
	v_mul_f32_e64 v2, v4, -v7
	v_dual_mul_f32 v3, v4, v6 :: v_dual_add_nc_u32 v4, s16, v1
	v_fmac_f32_e32 v2, v6, v5
	s_delay_alu instid0(VALU_DEP_2) | instskip(NEXT) | instid1(VALU_DEP_3)
	v_fmac_f32_e32 v3, v7, v5
	v_ashrrev_i32_e32 v5, 31, v4
	s_and_saveexec_b32 s3, s21
	s_delay_alu instid0(SALU_CYCLE_1)
	s_xor_b32 s3, exec_lo, s3
	s_cbranch_execz .LBB77_25
; %bb.24:                               ;   in Loop: Header=BB77_11 Depth=1
	s_delay_alu instid0(VALU_DEP_1) | instskip(NEXT) | instid1(VALU_DEP_1)
	v_lshlrev_b64 v[4:5], 3, v[4:5]
	v_add_co_u32 v4, vcc_lo, s14, v4
	s_delay_alu instid0(VALU_DEP_2)
	v_add_co_ci_u32_e32 v5, vcc_lo, s15, v5, vcc_lo
	global_store_b64 v[4:5], v[2:3], off
                                        ; implicit-def: $vgpr4
                                        ; implicit-def: $vgpr2
.LBB77_25:                              ;   in Loop: Header=BB77_11 Depth=1
	s_and_not1_saveexec_b32 s3, s3
	s_cbranch_execz .LBB77_10
; %bb.26:                               ;   in Loop: Header=BB77_11 Depth=1
	v_lshlrev_b64 v[4:5], 3, v[4:5]
	s_delay_alu instid0(VALU_DEP_1) | instskip(NEXT) | instid1(VALU_DEP_2)
	v_add_co_u32 v4, vcc_lo, s14, v4
	v_add_co_ci_u32_e32 v5, vcc_lo, s15, v5, vcc_lo
	global_load_b64 v[16:17], v[4:5], off
	s_waitcnt vmcnt(0)
	v_fmac_f32_e32 v2, v8, v16
	v_fmac_f32_e32 v3, v9, v16
	s_delay_alu instid0(VALU_DEP_2) | instskip(NEXT) | instid1(VALU_DEP_2)
	v_fma_f32 v2, -v9, v17, v2
	v_fmac_f32_e32 v3, v8, v17
	global_store_b64 v[4:5], v[2:3], off
	s_branch .LBB77_10
.LBB77_27:
	s_nop 0
	s_sendmsg sendmsg(MSG_DEALLOC_VGPRS)
	s_endpgm
.LBB77_28:
	v_dual_mov_b32 v1, s4 :: v_dual_mov_b32 v2, s5
	flat_load_b32 v6, v[1:2]
	v_cndmask_b32_e64 v1, 0, 1, s6
	v_mov_b32_e32 v7, s5
	s_and_not1_b32 vcc_lo, exec_lo, s6
	s_cbranch_vccnz .LBB77_2
.LBB77_29:
	v_dual_mov_b32 v2, s4 :: v_dual_mov_b32 v3, s5
	flat_load_b32 v7, v[2:3] offset:4
	v_cmp_ne_u32_e32 vcc_lo, 1, v1
	v_mov_b32_e32 v8, s2
	s_cbranch_vccnz .LBB77_3
.LBB77_30:
	v_dual_mov_b32 v2, s2 :: v_dual_mov_b32 v3, s3
	flat_load_b32 v8, v[2:3]
	v_cmp_ne_u32_e32 vcc_lo, 1, v1
	v_mov_b32_e32 v9, s3
	s_cbranch_vccz .LBB77_4
	s_branch .LBB77_5
	.section	.rodata,"a",@progbits
	.p2align	6, 0x0
	.amdhsa_kernel _ZN9rocsparseL23gebsrmvn_general_kernelILj512ELj32E21rocsparse_complex_numIfEEEvi20rocsparse_direction_NS_24const_host_device_scalarIT1_EEPKiS8_PKS5_iiSA_S6_PS5_21rocsparse_index_base_b
		.amdhsa_group_segment_fixed_size 0
		.amdhsa_private_segment_fixed_size 0
		.amdhsa_kernarg_size 80
		.amdhsa_user_sgpr_count 15
		.amdhsa_user_sgpr_dispatch_ptr 0
		.amdhsa_user_sgpr_queue_ptr 0
		.amdhsa_user_sgpr_kernarg_segment_ptr 1
		.amdhsa_user_sgpr_dispatch_id 0
		.amdhsa_user_sgpr_private_segment_size 0
		.amdhsa_wavefront_size32 1
		.amdhsa_uses_dynamic_stack 0
		.amdhsa_enable_private_segment 0
		.amdhsa_system_sgpr_workgroup_id_x 1
		.amdhsa_system_sgpr_workgroup_id_y 0
		.amdhsa_system_sgpr_workgroup_id_z 0
		.amdhsa_system_sgpr_workgroup_info 0
		.amdhsa_system_vgpr_workitem_id 0
		.amdhsa_next_free_vgpr 20
		.amdhsa_next_free_sgpr 28
		.amdhsa_reserve_vcc 1
		.amdhsa_float_round_mode_32 0
		.amdhsa_float_round_mode_16_64 0
		.amdhsa_float_denorm_mode_32 3
		.amdhsa_float_denorm_mode_16_64 3
		.amdhsa_dx10_clamp 1
		.amdhsa_ieee_mode 1
		.amdhsa_fp16_overflow 0
		.amdhsa_workgroup_processor_mode 1
		.amdhsa_memory_ordered 1
		.amdhsa_forward_progress 0
		.amdhsa_shared_vgpr_count 0
		.amdhsa_exception_fp_ieee_invalid_op 0
		.amdhsa_exception_fp_denorm_src 0
		.amdhsa_exception_fp_ieee_div_zero 0
		.amdhsa_exception_fp_ieee_overflow 0
		.amdhsa_exception_fp_ieee_underflow 0
		.amdhsa_exception_fp_ieee_inexact 0
		.amdhsa_exception_int_div_zero 0
	.end_amdhsa_kernel
	.section	.text._ZN9rocsparseL23gebsrmvn_general_kernelILj512ELj32E21rocsparse_complex_numIfEEEvi20rocsparse_direction_NS_24const_host_device_scalarIT1_EEPKiS8_PKS5_iiSA_S6_PS5_21rocsparse_index_base_b,"axG",@progbits,_ZN9rocsparseL23gebsrmvn_general_kernelILj512ELj32E21rocsparse_complex_numIfEEEvi20rocsparse_direction_NS_24const_host_device_scalarIT1_EEPKiS8_PKS5_iiSA_S6_PS5_21rocsparse_index_base_b,comdat
.Lfunc_end77:
	.size	_ZN9rocsparseL23gebsrmvn_general_kernelILj512ELj32E21rocsparse_complex_numIfEEEvi20rocsparse_direction_NS_24const_host_device_scalarIT1_EEPKiS8_PKS5_iiSA_S6_PS5_21rocsparse_index_base_b, .Lfunc_end77-_ZN9rocsparseL23gebsrmvn_general_kernelILj512ELj32E21rocsparse_complex_numIfEEEvi20rocsparse_direction_NS_24const_host_device_scalarIT1_EEPKiS8_PKS5_iiSA_S6_PS5_21rocsparse_index_base_b
                                        ; -- End function
	.section	.AMDGPU.csdata,"",@progbits
; Kernel info:
; codeLenInByte = 1268
; NumSgprs: 30
; NumVgprs: 20
; ScratchSize: 0
; MemoryBound: 0
; FloatMode: 240
; IeeeMode: 1
; LDSByteSize: 0 bytes/workgroup (compile time only)
; SGPRBlocks: 3
; VGPRBlocks: 2
; NumSGPRsForWavesPerEU: 30
; NumVGPRsForWavesPerEU: 20
; Occupancy: 16
; WaveLimiterHint : 1
; COMPUTE_PGM_RSRC2:SCRATCH_EN: 0
; COMPUTE_PGM_RSRC2:USER_SGPR: 15
; COMPUTE_PGM_RSRC2:TRAP_HANDLER: 0
; COMPUTE_PGM_RSRC2:TGID_X_EN: 1
; COMPUTE_PGM_RSRC2:TGID_Y_EN: 0
; COMPUTE_PGM_RSRC2:TGID_Z_EN: 0
; COMPUTE_PGM_RSRC2:TIDIG_COMP_CNT: 0
	.section	.text._ZN9rocsparseL22gebsrmvn_mxn_16_kernelILj56ELj14ELj1E21rocsparse_complex_numIfEEEvi20rocsparse_direction_NS_24const_host_device_scalarIT2_EEPKiS8_PKS5_iiSA_S6_PS5_21rocsparse_index_base_b,"axG",@progbits,_ZN9rocsparseL22gebsrmvn_mxn_16_kernelILj56ELj14ELj1E21rocsparse_complex_numIfEEEvi20rocsparse_direction_NS_24const_host_device_scalarIT2_EEPKiS8_PKS5_iiSA_S6_PS5_21rocsparse_index_base_b,comdat
	.globl	_ZN9rocsparseL22gebsrmvn_mxn_16_kernelILj56ELj14ELj1E21rocsparse_complex_numIfEEEvi20rocsparse_direction_NS_24const_host_device_scalarIT2_EEPKiS8_PKS5_iiSA_S6_PS5_21rocsparse_index_base_b ; -- Begin function _ZN9rocsparseL22gebsrmvn_mxn_16_kernelILj56ELj14ELj1E21rocsparse_complex_numIfEEEvi20rocsparse_direction_NS_24const_host_device_scalarIT2_EEPKiS8_PKS5_iiSA_S6_PS5_21rocsparse_index_base_b
	.p2align	8
	.type	_ZN9rocsparseL22gebsrmvn_mxn_16_kernelILj56ELj14ELj1E21rocsparse_complex_numIfEEEvi20rocsparse_direction_NS_24const_host_device_scalarIT2_EEPKiS8_PKS5_iiSA_S6_PS5_21rocsparse_index_base_b,@function
_ZN9rocsparseL22gebsrmvn_mxn_16_kernelILj56ELj14ELj1E21rocsparse_complex_numIfEEEvi20rocsparse_direction_NS_24const_host_device_scalarIT2_EEPKiS8_PKS5_iiSA_S6_PS5_21rocsparse_index_base_b: ; @_ZN9rocsparseL22gebsrmvn_mxn_16_kernelILj56ELj14ELj1E21rocsparse_complex_numIfEEEvi20rocsparse_direction_NS_24const_host_device_scalarIT2_EEPKiS8_PKS5_iiSA_S6_PS5_21rocsparse_index_base_b
; %bb.0:
	s_clause 0x2
	s_load_b64 s[10:11], s[0:1], 0x48
	s_load_b64 s[4:5], s[0:1], 0x8
	;; [unrolled: 1-line block ×3, first 2 shown]
	s_mov_b32 s8, s15
	s_waitcnt lgkmcnt(0)
	s_bitcmp1_b32 s11, 0
	v_mov_b32_e32 v9, s4
	s_cselect_b32 s6, -1, 0
	s_delay_alu instid0(SALU_CYCLE_1)
	s_and_b32 vcc_lo, exec_lo, s6
	s_xor_b32 s6, s6, -1
	s_cbranch_vccz .LBB78_10
; %bb.1:
	v_cndmask_b32_e64 v1, 0, 1, s6
	v_mov_b32_e32 v10, s5
	s_and_not1_b32 vcc_lo, exec_lo, s6
	s_cbranch_vccz .LBB78_11
.LBB78_2:
	s_delay_alu instid0(VALU_DEP_2)
	v_cmp_ne_u32_e32 vcc_lo, 1, v1
	v_mov_b32_e32 v7, s2
	s_cbranch_vccz .LBB78_12
.LBB78_3:
	v_cmp_ne_u32_e32 vcc_lo, 1, v1
	v_mov_b32_e32 v8, s3
	s_cbranch_vccnz .LBB78_5
.LBB78_4:
	v_dual_mov_b32 v1, s2 :: v_dual_mov_b32 v2, s3
	flat_load_b32 v8, v[1:2] offset:4
.LBB78_5:
	s_waitcnt vmcnt(0) lgkmcnt(0)
	v_cmp_eq_f32_e32 vcc_lo, 0, v9
	v_cmp_eq_f32_e64 s2, 0, v10
	s_delay_alu instid0(VALU_DEP_1)
	s_and_b32 s4, vcc_lo, s2
	s_mov_b32 s2, -1
	s_and_saveexec_b32 s3, s4
; %bb.6:
	v_cmp_neq_f32_e32 vcc_lo, 1.0, v7
	v_cmp_neq_f32_e64 s2, 0, v8
	s_delay_alu instid0(VALU_DEP_1) | instskip(NEXT) | instid1(SALU_CYCLE_1)
	s_or_b32 s2, vcc_lo, s2
	s_or_not1_b32 s2, s2, exec_lo
; %bb.7:
	s_or_b32 exec_lo, exec_lo, s3
	s_and_saveexec_b32 s3, s2
	s_cbranch_execz .LBB78_30
; %bb.8:
	s_load_b64 s[2:3], s[0:1], 0x10
	s_ashr_i32 s9, s8, 31
	s_delay_alu instid0(SALU_CYCLE_1)
	s_lshl_b64 s[4:5], s[8:9], 2
	s_waitcnt lgkmcnt(0)
	s_add_u32 s2, s2, s4
	s_addc_u32 s3, s3, s5
	s_load_b64 s[12:13], s[2:3], 0x0
	s_waitcnt lgkmcnt(0)
	s_cmp_lt_i32 s12, s13
	s_cbranch_scc1 .LBB78_13
; %bb.9:
	s_mov_b32 s4, 0
	s_mov_b32 s5, 0
	s_branch .LBB78_14
.LBB78_10:
	v_dual_mov_b32 v1, s4 :: v_dual_mov_b32 v2, s5
	flat_load_b32 v9, v[1:2]
	v_cndmask_b32_e64 v1, 0, 1, s6
	v_mov_b32_e32 v10, s5
	s_and_not1_b32 vcc_lo, exec_lo, s6
	s_cbranch_vccnz .LBB78_2
.LBB78_11:
	v_dual_mov_b32 v2, s4 :: v_dual_mov_b32 v3, s5
	flat_load_b32 v10, v[2:3] offset:4
	v_cmp_ne_u32_e32 vcc_lo, 1, v1
	v_mov_b32_e32 v7, s2
	s_cbranch_vccnz .LBB78_3
.LBB78_12:
	v_dual_mov_b32 v2, s2 :: v_dual_mov_b32 v3, s3
	flat_load_b32 v7, v[2:3]
	v_cmp_ne_u32_e32 vcc_lo, 1, v1
	v_mov_b32_e32 v8, s3
	s_cbranch_vccz .LBB78_4
	s_branch .LBB78_5
.LBB78_13:
	s_mov_b32 s4, -1
                                        ; implicit-def: $sgpr5
.LBB78_14:
	s_load_b64 s[2:3], s[0:1], 0x40
	v_dual_mov_b32 v2, s5 :: v_dual_mov_b32 v1, s5
	s_and_not1_b32 vcc_lo, exec_lo, s4
	s_cbranch_vccnz .LBB78_19
; %bb.15:
	s_clause 0x1
	s_load_b128 s[4:7], s[0:1], 0x18
	s_load_b64 s[0:1], s[0:1], 0x30
	v_mad_u64_u32 v[1:2], null, s12, 14, v[0:1]
	v_mul_u32_u24_e32 v3, 0x124a, v0
	v_mov_b32_e32 v2, 0
	s_mul_i32 s9, s10, 14
	v_mov_b32_e32 v4, 0
	s_sub_i32 s11, s12, s10
	v_lshrrev_b32_e32 v11, 16, v3
	v_subrev_nc_u32_e32 v3, s9, v1
	v_mov_b32_e32 v1, v2
	s_sub_i32 s9, s13, s10
	s_set_inst_prefetch_distance 0x1
	s_branch .LBB78_17
	.p2align	6
.LBB78_16:                              ;   in Loop: Header=BB78_17 Depth=1
	s_or_b32 exec_lo, exec_lo, s12
	v_add_nc_u32_e32 v3, 56, v3
	s_add_i32 s11, s11, 4
	s_delay_alu instid0(SALU_CYCLE_1)
	s_cmp_ge_i32 s11, s9
	s_cbranch_scc1 .LBB78_19
.LBB78_17:                              ; =>This Inner Loop Header: Depth=1
	v_add_nc_u32_e32 v5, s11, v11
	s_mov_b32 s12, exec_lo
	s_delay_alu instid0(VALU_DEP_1)
	v_cmpx_gt_i32_e64 s9, v5
	s_cbranch_execz .LBB78_16
; %bb.18:                               ;   in Loop: Header=BB78_17 Depth=1
	v_ashrrev_i32_e32 v6, 31, v5
	v_lshlrev_b64 v[12:13], 3, v[3:4]
	s_delay_alu instid0(VALU_DEP_2) | instskip(SKIP_1) | instid1(VALU_DEP_1)
	v_lshlrev_b64 v[5:6], 2, v[5:6]
	s_waitcnt lgkmcnt(0)
	v_add_co_u32 v5, vcc_lo, s4, v5
	s_delay_alu instid0(VALU_DEP_2) | instskip(NEXT) | instid1(VALU_DEP_4)
	v_add_co_ci_u32_e32 v6, vcc_lo, s5, v6, vcc_lo
	v_add_co_u32 v12, vcc_lo, s6, v12
	v_add_co_ci_u32_e32 v13, vcc_lo, s7, v13, vcc_lo
	global_load_b32 v5, v[5:6], off
	s_waitcnt vmcnt(0)
	v_subrev_nc_u32_e32 v5, s10, v5
	s_delay_alu instid0(VALU_DEP_1) | instskip(NEXT) | instid1(VALU_DEP_1)
	v_ashrrev_i32_e32 v6, 31, v5
	v_lshlrev_b64 v[5:6], 3, v[5:6]
	s_delay_alu instid0(VALU_DEP_1) | instskip(NEXT) | instid1(VALU_DEP_2)
	v_add_co_u32 v5, vcc_lo, s0, v5
	v_add_co_ci_u32_e32 v6, vcc_lo, s1, v6, vcc_lo
	global_load_b64 v[12:13], v[12:13], off
	global_load_b64 v[5:6], v[5:6], off
	s_waitcnt vmcnt(0)
	v_fmac_f32_e32 v1, v12, v5
	v_fmac_f32_e32 v2, v13, v5
	s_delay_alu instid0(VALU_DEP_2) | instskip(NEXT) | instid1(VALU_DEP_2)
	v_fma_f32 v1, -v13, v6, v1
	v_fmac_f32_e32 v2, v12, v6
	s_branch .LBB78_16
.LBB78_19:
	s_set_inst_prefetch_distance 0x2
	v_lshlrev_b32_e32 v3, 3, v0
	s_waitcnt lgkmcnt(0)
	s_mov_b32 s0, exec_lo
	ds_store_b64 v3, v[1:2]
	s_waitcnt lgkmcnt(0)
	s_barrier
	buffer_gl0_inv
	v_cmpx_gt_u32_e32 28, v0
	s_cbranch_execz .LBB78_21
; %bb.20:
	ds_load_2addr_b64 v[11:14], v3 offset1:28
	s_waitcnt lgkmcnt(0)
	v_dual_add_f32 v4, v13, v11 :: v_dual_add_f32 v5, v14, v12
	ds_store_b64 v3, v[4:5]
.LBB78_21:
	s_or_b32 exec_lo, exec_lo, s0
	v_cmp_gt_u32_e32 vcc_lo, 14, v0
	s_waitcnt lgkmcnt(0)
	s_barrier
	buffer_gl0_inv
	s_and_saveexec_b32 s0, vcc_lo
	s_cbranch_execz .LBB78_23
; %bb.22:
	ds_load_2addr_b64 v[11:14], v3 offset1:14
	s_waitcnt lgkmcnt(0)
	v_dual_add_f32 v4, v13, v11 :: v_dual_add_f32 v5, v14, v12
	ds_store_b64 v3, v[4:5]
.LBB78_23:
	s_or_b32 exec_lo, exec_lo, s0
	s_waitcnt lgkmcnt(0)
	s_barrier
	buffer_gl0_inv
	s_and_saveexec_b32 s0, vcc_lo
	s_cbranch_execz .LBB78_25
; %bb.24:
	ds_load_b64 v[1:2], v3
.LBB78_25:
	s_or_b32 exec_lo, exec_lo, s0
	s_delay_alu instid0(SALU_CYCLE_1)
	s_and_b32 exec_lo, exec_lo, vcc_lo
	s_cbranch_execz .LBB78_30
; %bb.26:
	s_waitcnt lgkmcnt(0)
	v_mul_f32_e64 v3, v2, -v10
	v_mul_f32_e32 v4, v2, v9
	v_cmp_eq_f32_e32 vcc_lo, 0, v7
	v_cmp_eq_f32_e64 s0, 0, v8
	s_delay_alu instid0(VALU_DEP_4) | instskip(NEXT) | instid1(VALU_DEP_4)
	v_fmac_f32_e32 v3, v9, v1
	v_fmac_f32_e32 v4, v10, v1
	s_delay_alu instid0(VALU_DEP_3) | instskip(NEXT) | instid1(SALU_CYCLE_1)
	s_and_b32 s0, vcc_lo, s0
	s_and_saveexec_b32 s1, s0
	s_delay_alu instid0(SALU_CYCLE_1)
	s_xor_b32 s0, exec_lo, s1
	s_cbranch_execz .LBB78_28
; %bb.27:
	v_mad_u64_u32 v[1:2], null, s8, 14, v[0:1]
	v_mov_b32_e32 v2, 0
                                        ; implicit-def: $vgpr7
                                        ; implicit-def: $vgpr8
	s_delay_alu instid0(VALU_DEP_1) | instskip(NEXT) | instid1(VALU_DEP_1)
	v_lshlrev_b64 v[0:1], 3, v[1:2]
	v_add_co_u32 v0, vcc_lo, s2, v0
	s_delay_alu instid0(VALU_DEP_2)
	v_add_co_ci_u32_e32 v1, vcc_lo, s3, v1, vcc_lo
	global_store_b64 v[0:1], v[3:4], off
                                        ; implicit-def: $vgpr0
                                        ; implicit-def: $vgpr3
.LBB78_28:
	s_and_not1_saveexec_b32 s0, s0
	s_cbranch_execz .LBB78_30
; %bb.29:
	v_mad_u64_u32 v[1:2], null, s8, 14, v[0:1]
	v_mov_b32_e32 v2, 0
	s_delay_alu instid0(VALU_DEP_1) | instskip(NEXT) | instid1(VALU_DEP_1)
	v_lshlrev_b64 v[0:1], 3, v[1:2]
	v_add_co_u32 v0, vcc_lo, s2, v0
	s_delay_alu instid0(VALU_DEP_2) | instskip(SKIP_4) | instid1(VALU_DEP_2)
	v_add_co_ci_u32_e32 v1, vcc_lo, s3, v1, vcc_lo
	global_load_b64 v[5:6], v[0:1], off
	s_waitcnt vmcnt(0)
	v_fmac_f32_e32 v3, v7, v5
	v_fmac_f32_e32 v4, v8, v5
	v_fma_f32 v3, -v8, v6, v3
	s_delay_alu instid0(VALU_DEP_2)
	v_fmac_f32_e32 v4, v7, v6
	global_store_b64 v[0:1], v[3:4], off
.LBB78_30:
	s_nop 0
	s_sendmsg sendmsg(MSG_DEALLOC_VGPRS)
	s_endpgm
	.section	.rodata,"a",@progbits
	.p2align	6, 0x0
	.amdhsa_kernel _ZN9rocsparseL22gebsrmvn_mxn_16_kernelILj56ELj14ELj1E21rocsparse_complex_numIfEEEvi20rocsparse_direction_NS_24const_host_device_scalarIT2_EEPKiS8_PKS5_iiSA_S6_PS5_21rocsparse_index_base_b
		.amdhsa_group_segment_fixed_size 448
		.amdhsa_private_segment_fixed_size 0
		.amdhsa_kernarg_size 80
		.amdhsa_user_sgpr_count 15
		.amdhsa_user_sgpr_dispatch_ptr 0
		.amdhsa_user_sgpr_queue_ptr 0
		.amdhsa_user_sgpr_kernarg_segment_ptr 1
		.amdhsa_user_sgpr_dispatch_id 0
		.amdhsa_user_sgpr_private_segment_size 0
		.amdhsa_wavefront_size32 1
		.amdhsa_uses_dynamic_stack 0
		.amdhsa_enable_private_segment 0
		.amdhsa_system_sgpr_workgroup_id_x 1
		.amdhsa_system_sgpr_workgroup_id_y 0
		.amdhsa_system_sgpr_workgroup_id_z 0
		.amdhsa_system_sgpr_workgroup_info 0
		.amdhsa_system_vgpr_workitem_id 0
		.amdhsa_next_free_vgpr 15
		.amdhsa_next_free_sgpr 16
		.amdhsa_reserve_vcc 1
		.amdhsa_float_round_mode_32 0
		.amdhsa_float_round_mode_16_64 0
		.amdhsa_float_denorm_mode_32 3
		.amdhsa_float_denorm_mode_16_64 3
		.amdhsa_dx10_clamp 1
		.amdhsa_ieee_mode 1
		.amdhsa_fp16_overflow 0
		.amdhsa_workgroup_processor_mode 1
		.amdhsa_memory_ordered 1
		.amdhsa_forward_progress 0
		.amdhsa_shared_vgpr_count 0
		.amdhsa_exception_fp_ieee_invalid_op 0
		.amdhsa_exception_fp_denorm_src 0
		.amdhsa_exception_fp_ieee_div_zero 0
		.amdhsa_exception_fp_ieee_overflow 0
		.amdhsa_exception_fp_ieee_underflow 0
		.amdhsa_exception_fp_ieee_inexact 0
		.amdhsa_exception_int_div_zero 0
	.end_amdhsa_kernel
	.section	.text._ZN9rocsparseL22gebsrmvn_mxn_16_kernelILj56ELj14ELj1E21rocsparse_complex_numIfEEEvi20rocsparse_direction_NS_24const_host_device_scalarIT2_EEPKiS8_PKS5_iiSA_S6_PS5_21rocsparse_index_base_b,"axG",@progbits,_ZN9rocsparseL22gebsrmvn_mxn_16_kernelILj56ELj14ELj1E21rocsparse_complex_numIfEEEvi20rocsparse_direction_NS_24const_host_device_scalarIT2_EEPKiS8_PKS5_iiSA_S6_PS5_21rocsparse_index_base_b,comdat
.Lfunc_end78:
	.size	_ZN9rocsparseL22gebsrmvn_mxn_16_kernelILj56ELj14ELj1E21rocsparse_complex_numIfEEEvi20rocsparse_direction_NS_24const_host_device_scalarIT2_EEPKiS8_PKS5_iiSA_S6_PS5_21rocsparse_index_base_b, .Lfunc_end78-_ZN9rocsparseL22gebsrmvn_mxn_16_kernelILj56ELj14ELj1E21rocsparse_complex_numIfEEEvi20rocsparse_direction_NS_24const_host_device_scalarIT2_EEPKiS8_PKS5_iiSA_S6_PS5_21rocsparse_index_base_b
                                        ; -- End function
	.section	.AMDGPU.csdata,"",@progbits
; Kernel info:
; codeLenInByte = 1064
; NumSgprs: 18
; NumVgprs: 15
; ScratchSize: 0
; MemoryBound: 0
; FloatMode: 240
; IeeeMode: 1
; LDSByteSize: 448 bytes/workgroup (compile time only)
; SGPRBlocks: 2
; VGPRBlocks: 1
; NumSGPRsForWavesPerEU: 18
; NumVGPRsForWavesPerEU: 15
; Occupancy: 16
; WaveLimiterHint : 1
; COMPUTE_PGM_RSRC2:SCRATCH_EN: 0
; COMPUTE_PGM_RSRC2:USER_SGPR: 15
; COMPUTE_PGM_RSRC2:TRAP_HANDLER: 0
; COMPUTE_PGM_RSRC2:TGID_X_EN: 1
; COMPUTE_PGM_RSRC2:TGID_Y_EN: 0
; COMPUTE_PGM_RSRC2:TGID_Z_EN: 0
; COMPUTE_PGM_RSRC2:TIDIG_COMP_CNT: 0
	.section	.text._ZN9rocsparseL22gebsrmvn_mxn_16_kernelILj56ELj14ELj2E21rocsparse_complex_numIfEEEvi20rocsparse_direction_NS_24const_host_device_scalarIT2_EEPKiS8_PKS5_iiSA_S6_PS5_21rocsparse_index_base_b,"axG",@progbits,_ZN9rocsparseL22gebsrmvn_mxn_16_kernelILj56ELj14ELj2E21rocsparse_complex_numIfEEEvi20rocsparse_direction_NS_24const_host_device_scalarIT2_EEPKiS8_PKS5_iiSA_S6_PS5_21rocsparse_index_base_b,comdat
	.globl	_ZN9rocsparseL22gebsrmvn_mxn_16_kernelILj56ELj14ELj2E21rocsparse_complex_numIfEEEvi20rocsparse_direction_NS_24const_host_device_scalarIT2_EEPKiS8_PKS5_iiSA_S6_PS5_21rocsparse_index_base_b ; -- Begin function _ZN9rocsparseL22gebsrmvn_mxn_16_kernelILj56ELj14ELj2E21rocsparse_complex_numIfEEEvi20rocsparse_direction_NS_24const_host_device_scalarIT2_EEPKiS8_PKS5_iiSA_S6_PS5_21rocsparse_index_base_b
	.p2align	8
	.type	_ZN9rocsparseL22gebsrmvn_mxn_16_kernelILj56ELj14ELj2E21rocsparse_complex_numIfEEEvi20rocsparse_direction_NS_24const_host_device_scalarIT2_EEPKiS8_PKS5_iiSA_S6_PS5_21rocsparse_index_base_b,@function
_ZN9rocsparseL22gebsrmvn_mxn_16_kernelILj56ELj14ELj2E21rocsparse_complex_numIfEEEvi20rocsparse_direction_NS_24const_host_device_scalarIT2_EEPKiS8_PKS5_iiSA_S6_PS5_21rocsparse_index_base_b: ; @_ZN9rocsparseL22gebsrmvn_mxn_16_kernelILj56ELj14ELj2E21rocsparse_complex_numIfEEEvi20rocsparse_direction_NS_24const_host_device_scalarIT2_EEPKiS8_PKS5_iiSA_S6_PS5_21rocsparse_index_base_b
; %bb.0:
	s_clause 0x2
	s_load_b64 s[10:11], s[0:1], 0x48
	s_load_b64 s[4:5], s[0:1], 0x8
	;; [unrolled: 1-line block ×3, first 2 shown]
	s_mov_b32 s8, s15
	s_waitcnt lgkmcnt(0)
	s_bitcmp1_b32 s11, 0
	v_mov_b32_e32 v9, s4
	s_cselect_b32 s6, -1, 0
	s_delay_alu instid0(SALU_CYCLE_1)
	s_and_b32 vcc_lo, exec_lo, s6
	s_xor_b32 s6, s6, -1
	s_cbranch_vccz .LBB79_15
; %bb.1:
	v_cndmask_b32_e64 v1, 0, 1, s6
	v_mov_b32_e32 v10, s5
	s_and_not1_b32 vcc_lo, exec_lo, s6
	s_cbranch_vccz .LBB79_16
.LBB79_2:
	s_delay_alu instid0(VALU_DEP_2)
	v_cmp_ne_u32_e32 vcc_lo, 1, v1
	v_mov_b32_e32 v7, s2
	s_cbranch_vccz .LBB79_17
.LBB79_3:
	v_cmp_ne_u32_e32 vcc_lo, 1, v1
	v_mov_b32_e32 v8, s3
	s_cbranch_vccnz .LBB79_5
.LBB79_4:
	v_dual_mov_b32 v1, s2 :: v_dual_mov_b32 v2, s3
	flat_load_b32 v8, v[1:2] offset:4
.LBB79_5:
	s_waitcnt vmcnt(0) lgkmcnt(0)
	v_cmp_eq_f32_e32 vcc_lo, 0, v9
	v_cmp_eq_f32_e64 s2, 0, v10
	s_delay_alu instid0(VALU_DEP_1)
	s_and_b32 s4, vcc_lo, s2
	s_mov_b32 s2, -1
	s_and_saveexec_b32 s3, s4
; %bb.6:
	v_cmp_neq_f32_e32 vcc_lo, 1.0, v7
	v_cmp_neq_f32_e64 s2, 0, v8
	s_delay_alu instid0(VALU_DEP_1) | instskip(NEXT) | instid1(SALU_CYCLE_1)
	s_or_b32 s2, vcc_lo, s2
	s_or_not1_b32 s2, s2, exec_lo
; %bb.7:
	s_or_b32 exec_lo, exec_lo, s3
	s_and_saveexec_b32 s3, s2
	s_cbranch_execz .LBB79_37
; %bb.8:
	s_clause 0x1
	s_load_b32 s4, s[0:1], 0x4
	s_load_b64 s[2:3], s[0:1], 0x10
	v_and_b32_e32 v11, 1, v0
	s_delay_alu instid0(VALU_DEP_1) | instskip(SKIP_3) | instid1(SALU_CYCLE_1)
	v_mov_b32_e32 v12, v11
	s_waitcnt lgkmcnt(0)
	s_cmp_lg_u32 s4, 1
	s_cselect_b32 s11, -1, 0
	s_and_b32 vcc_lo, exec_lo, s11
	s_cbranch_vccnz .LBB79_10
; %bb.9:
	v_mul_u32_u24_e32 v1, 0x124a, v0
	s_delay_alu instid0(VALU_DEP_1)
	v_bfe_u32 v12, v1, 16, 1
.LBB79_10:
	s_ashr_i32 s9, s8, 31
	v_dual_mov_b32 v2, 0 :: v_dual_mov_b32 v1, 0
	s_lshl_b64 s[4:5], s[8:9], 2
	s_delay_alu instid0(SALU_CYCLE_1)
	s_add_u32 s2, s2, s4
	s_addc_u32 s3, s3, s5
	s_load_b64 s[12:13], s[2:3], 0x0
	s_load_b64 s[2:3], s[0:1], 0x40
	s_waitcnt lgkmcnt(0)
	s_cmp_ge_i32 s12, s13
	s_cbranch_scc1 .LBB79_18
; %bb.11:
	s_clause 0x1
	s_load_b128 s[4:7], s[0:1], 0x18
	s_load_b64 s[0:1], s[0:1], 0x30
	v_mad_u64_u32 v[1:2], null, s12, 28, v[0:1]
	v_mul_u32_u24_e32 v3, 0x925, v0
	v_mov_b32_e32 v2, 0
	s_mul_i32 s9, s10, 28
	v_mov_b32_e32 v4, 0
	s_sub_i32 s12, s12, s10
	v_lshrrev_b32_e32 v13, 16, v3
	v_subrev_nc_u32_e32 v3, s9, v1
	v_mov_b32_e32 v1, v2
	s_sub_i32 s9, s13, s10
	s_set_inst_prefetch_distance 0x1
	s_branch .LBB79_13
	.p2align	6
.LBB79_12:                              ;   in Loop: Header=BB79_13 Depth=1
	s_or_b32 exec_lo, exec_lo, s13
	v_add_nc_u32_e32 v3, 56, v3
	s_add_i32 s12, s12, 2
	s_delay_alu instid0(SALU_CYCLE_1)
	s_cmp_ge_i32 s12, s9
	s_cbranch_scc1 .LBB79_18
.LBB79_13:                              ; =>This Inner Loop Header: Depth=1
	v_add_nc_u32_e32 v5, s12, v13
	s_mov_b32 s13, exec_lo
	s_delay_alu instid0(VALU_DEP_1)
	v_cmpx_gt_i32_e64 s9, v5
	s_cbranch_execz .LBB79_12
; %bb.14:                               ;   in Loop: Header=BB79_13 Depth=1
	v_ashrrev_i32_e32 v6, 31, v5
	v_lshlrev_b64 v[14:15], 3, v[3:4]
	s_delay_alu instid0(VALU_DEP_2) | instskip(SKIP_1) | instid1(VALU_DEP_1)
	v_lshlrev_b64 v[5:6], 2, v[5:6]
	s_waitcnt lgkmcnt(0)
	v_add_co_u32 v5, vcc_lo, s4, v5
	s_delay_alu instid0(VALU_DEP_2) | instskip(NEXT) | instid1(VALU_DEP_4)
	v_add_co_ci_u32_e32 v6, vcc_lo, s5, v6, vcc_lo
	v_add_co_u32 v14, vcc_lo, s6, v14
	v_add_co_ci_u32_e32 v15, vcc_lo, s7, v15, vcc_lo
	global_load_b32 v5, v[5:6], off
	s_waitcnt vmcnt(0)
	v_subrev_nc_u32_e32 v5, s10, v5
	s_delay_alu instid0(VALU_DEP_1) | instskip(NEXT) | instid1(VALU_DEP_1)
	v_lshl_or_b32 v5, v5, 1, v12
	v_ashrrev_i32_e32 v6, 31, v5
	s_delay_alu instid0(VALU_DEP_1) | instskip(NEXT) | instid1(VALU_DEP_1)
	v_lshlrev_b64 v[5:6], 3, v[5:6]
	v_add_co_u32 v5, vcc_lo, s0, v5
	s_delay_alu instid0(VALU_DEP_2)
	v_add_co_ci_u32_e32 v6, vcc_lo, s1, v6, vcc_lo
	global_load_b64 v[14:15], v[14:15], off
	global_load_b64 v[5:6], v[5:6], off
	s_waitcnt vmcnt(0)
	v_fmac_f32_e32 v1, v14, v5
	v_fmac_f32_e32 v2, v15, v5
	s_delay_alu instid0(VALU_DEP_2) | instskip(NEXT) | instid1(VALU_DEP_2)
	v_fma_f32 v1, -v15, v6, v1
	v_fmac_f32_e32 v2, v14, v6
	s_branch .LBB79_12
.LBB79_15:
	v_dual_mov_b32 v1, s4 :: v_dual_mov_b32 v2, s5
	flat_load_b32 v9, v[1:2]
	v_cndmask_b32_e64 v1, 0, 1, s6
	v_mov_b32_e32 v10, s5
	s_and_not1_b32 vcc_lo, exec_lo, s6
	s_cbranch_vccnz .LBB79_2
.LBB79_16:
	v_dual_mov_b32 v2, s4 :: v_dual_mov_b32 v3, s5
	flat_load_b32 v10, v[2:3] offset:4
	v_cmp_ne_u32_e32 vcc_lo, 1, v1
	v_mov_b32_e32 v7, s2
	s_cbranch_vccnz .LBB79_3
.LBB79_17:
	v_dual_mov_b32 v2, s2 :: v_dual_mov_b32 v3, s3
	flat_load_b32 v7, v[2:3]
	v_cmp_ne_u32_e32 vcc_lo, 1, v1
	v_mov_b32_e32 v8, s3
	s_cbranch_vccz .LBB79_4
	s_branch .LBB79_5
.LBB79_18:
	s_set_inst_prefetch_distance 0x2
	v_lshlrev_b32_e32 v5, 3, v0
	s_waitcnt lgkmcnt(0)
	s_mov_b32 s0, exec_lo
	ds_store_b64 v5, v[1:2]
	s_waitcnt lgkmcnt(0)
	s_barrier
	buffer_gl0_inv
	v_cmpx_gt_u32_e32 28, v0
	s_cbranch_execz .LBB79_20
; %bb.19:
	ds_load_2addr_b64 v[12:15], v5 offset1:28
	s_waitcnt lgkmcnt(0)
	v_dual_add_f32 v3, v14, v12 :: v_dual_add_f32 v4, v15, v13
	ds_store_b64 v5, v[3:4]
.LBB79_20:
	s_or_b32 exec_lo, exec_lo, s0
	s_delay_alu instid0(SALU_CYCLE_1)
	s_and_b32 vcc_lo, exec_lo, s11
	s_waitcnt lgkmcnt(0)
	s_barrier
	buffer_gl0_inv
	s_cbranch_vccz .LBB79_26
; %bb.21:
	s_mov_b32 s0, exec_lo
	v_cmpx_eq_u32_e32 0, v11
	s_cbranch_execz .LBB79_23
; %bb.22:
	ds_load_2addr_b64 v[11:14], v5 offset1:1
	s_waitcnt lgkmcnt(0)
	v_dual_add_f32 v3, v13, v11 :: v_dual_add_f32 v4, v14, v12
	ds_store_b64 v5, v[3:4]
.LBB79_23:
	s_or_b32 exec_lo, exec_lo, s0
	v_dual_mov_b32 v4, v2 :: v_dual_mov_b32 v3, v1
	s_mov_b32 s0, exec_lo
	s_waitcnt lgkmcnt(0)
	s_barrier
	buffer_gl0_inv
	v_cmpx_gt_u32_e32 14, v0
	s_cbranch_execz .LBB79_25
; %bb.24:
	v_lshl_add_u32 v3, v0, 3, v5
	ds_load_b64 v[3:4], v3
.LBB79_25:
	s_or_b32 exec_lo, exec_lo, s0
	s_branch .LBB79_32
.LBB79_26:
                                        ; implicit-def: $vgpr4
	s_cbranch_execz .LBB79_32
; %bb.27:
	s_mov_b32 s0, exec_lo
	v_cmpx_lt_u32_e32 13, v0
	s_xor_b32 s0, exec_lo, s0
	s_cbranch_execz .LBB79_29
; %bb.28:
	s_waitcnt lgkmcnt(0)
	buffer_gl0_inv
                                        ; implicit-def: $vgpr5
.LBB79_29:
	s_and_not1_saveexec_b32 s0, s0
	s_cbranch_execz .LBB79_31
; %bb.30:
	s_waitcnt lgkmcnt(0)
	ds_load_2addr_b64 v[1:4], v5 offset1:14
	s_waitcnt lgkmcnt(0)
	v_dual_add_f32 v1, v3, v1 :: v_dual_add_f32 v2, v4, v2
	ds_store_b64 v5, v[1:2]
	s_waitcnt lgkmcnt(0)
	buffer_gl0_inv
	ds_load_b64 v[1:2], v5
.LBB79_31:
	s_or_b32 exec_lo, exec_lo, s0
	s_waitcnt lgkmcnt(0)
	v_dual_mov_b32 v3, v1 :: v_dual_mov_b32 v4, v2
.LBB79_32:
	v_cmp_gt_u32_e32 vcc_lo, 14, v0
	s_and_b32 exec_lo, exec_lo, vcc_lo
	s_cbranch_execz .LBB79_37
; %bb.33:
	s_waitcnt lgkmcnt(0)
	v_mul_f32_e64 v1, v4, -v10
	v_mul_f32_e32 v2, v4, v9
	v_cmp_eq_f32_e32 vcc_lo, 0, v7
	v_cmp_eq_f32_e64 s0, 0, v8
	s_delay_alu instid0(VALU_DEP_4) | instskip(NEXT) | instid1(VALU_DEP_4)
	v_fmac_f32_e32 v1, v9, v3
	v_fmac_f32_e32 v2, v10, v3
	s_delay_alu instid0(VALU_DEP_3) | instskip(NEXT) | instid1(SALU_CYCLE_1)
	s_and_b32 s0, vcc_lo, s0
	s_and_saveexec_b32 s1, s0
	s_delay_alu instid0(SALU_CYCLE_1)
	s_xor_b32 s0, exec_lo, s1
	s_cbranch_execz .LBB79_35
; %bb.34:
	v_mad_u64_u32 v[3:4], null, s8, 14, v[0:1]
	v_mov_b32_e32 v4, 0
                                        ; implicit-def: $vgpr0
                                        ; implicit-def: $vgpr7
                                        ; implicit-def: $vgpr8
	s_delay_alu instid0(VALU_DEP_1) | instskip(NEXT) | instid1(VALU_DEP_1)
	v_lshlrev_b64 v[3:4], 3, v[3:4]
	v_add_co_u32 v3, vcc_lo, s2, v3
	s_delay_alu instid0(VALU_DEP_2)
	v_add_co_ci_u32_e32 v4, vcc_lo, s3, v4, vcc_lo
	global_store_b64 v[3:4], v[1:2], off
                                        ; implicit-def: $vgpr1
.LBB79_35:
	s_and_not1_saveexec_b32 s0, s0
	s_cbranch_execz .LBB79_37
; %bb.36:
	v_mad_u64_u32 v[3:4], null, s8, 14, v[0:1]
	v_mov_b32_e32 v4, 0
	s_delay_alu instid0(VALU_DEP_1) | instskip(NEXT) | instid1(VALU_DEP_1)
	v_lshlrev_b64 v[3:4], 3, v[3:4]
	v_add_co_u32 v3, vcc_lo, s2, v3
	s_delay_alu instid0(VALU_DEP_2) | instskip(SKIP_4) | instid1(VALU_DEP_2)
	v_add_co_ci_u32_e32 v4, vcc_lo, s3, v4, vcc_lo
	global_load_b64 v[5:6], v[3:4], off
	s_waitcnt vmcnt(0)
	v_fmac_f32_e32 v1, v7, v5
	v_fmac_f32_e32 v2, v8, v5
	v_fma_f32 v1, -v8, v6, v1
	s_delay_alu instid0(VALU_DEP_2)
	v_fmac_f32_e32 v2, v7, v6
	global_store_b64 v[3:4], v[1:2], off
.LBB79_37:
	s_nop 0
	s_sendmsg sendmsg(MSG_DEALLOC_VGPRS)
	s_endpgm
	.section	.rodata,"a",@progbits
	.p2align	6, 0x0
	.amdhsa_kernel _ZN9rocsparseL22gebsrmvn_mxn_16_kernelILj56ELj14ELj2E21rocsparse_complex_numIfEEEvi20rocsparse_direction_NS_24const_host_device_scalarIT2_EEPKiS8_PKS5_iiSA_S6_PS5_21rocsparse_index_base_b
		.amdhsa_group_segment_fixed_size 448
		.amdhsa_private_segment_fixed_size 0
		.amdhsa_kernarg_size 80
		.amdhsa_user_sgpr_count 15
		.amdhsa_user_sgpr_dispatch_ptr 0
		.amdhsa_user_sgpr_queue_ptr 0
		.amdhsa_user_sgpr_kernarg_segment_ptr 1
		.amdhsa_user_sgpr_dispatch_id 0
		.amdhsa_user_sgpr_private_segment_size 0
		.amdhsa_wavefront_size32 1
		.amdhsa_uses_dynamic_stack 0
		.amdhsa_enable_private_segment 0
		.amdhsa_system_sgpr_workgroup_id_x 1
		.amdhsa_system_sgpr_workgroup_id_y 0
		.amdhsa_system_sgpr_workgroup_id_z 0
		.amdhsa_system_sgpr_workgroup_info 0
		.amdhsa_system_vgpr_workitem_id 0
		.amdhsa_next_free_vgpr 16
		.amdhsa_next_free_sgpr 16
		.amdhsa_reserve_vcc 1
		.amdhsa_float_round_mode_32 0
		.amdhsa_float_round_mode_16_64 0
		.amdhsa_float_denorm_mode_32 3
		.amdhsa_float_denorm_mode_16_64 3
		.amdhsa_dx10_clamp 1
		.amdhsa_ieee_mode 1
		.amdhsa_fp16_overflow 0
		.amdhsa_workgroup_processor_mode 1
		.amdhsa_memory_ordered 1
		.amdhsa_forward_progress 0
		.amdhsa_shared_vgpr_count 0
		.amdhsa_exception_fp_ieee_invalid_op 0
		.amdhsa_exception_fp_denorm_src 0
		.amdhsa_exception_fp_ieee_div_zero 0
		.amdhsa_exception_fp_ieee_overflow 0
		.amdhsa_exception_fp_ieee_underflow 0
		.amdhsa_exception_fp_ieee_inexact 0
		.amdhsa_exception_int_div_zero 0
	.end_amdhsa_kernel
	.section	.text._ZN9rocsparseL22gebsrmvn_mxn_16_kernelILj56ELj14ELj2E21rocsparse_complex_numIfEEEvi20rocsparse_direction_NS_24const_host_device_scalarIT2_EEPKiS8_PKS5_iiSA_S6_PS5_21rocsparse_index_base_b,"axG",@progbits,_ZN9rocsparseL22gebsrmvn_mxn_16_kernelILj56ELj14ELj2E21rocsparse_complex_numIfEEEvi20rocsparse_direction_NS_24const_host_device_scalarIT2_EEPKiS8_PKS5_iiSA_S6_PS5_21rocsparse_index_base_b,comdat
.Lfunc_end79:
	.size	_ZN9rocsparseL22gebsrmvn_mxn_16_kernelILj56ELj14ELj2E21rocsparse_complex_numIfEEEvi20rocsparse_direction_NS_24const_host_device_scalarIT2_EEPKiS8_PKS5_iiSA_S6_PS5_21rocsparse_index_base_b, .Lfunc_end79-_ZN9rocsparseL22gebsrmvn_mxn_16_kernelILj56ELj14ELj2E21rocsparse_complex_numIfEEEvi20rocsparse_direction_NS_24const_host_device_scalarIT2_EEPKiS8_PKS5_iiSA_S6_PS5_21rocsparse_index_base_b
                                        ; -- End function
	.section	.AMDGPU.csdata,"",@progbits
; Kernel info:
; codeLenInByte = 1256
; NumSgprs: 18
; NumVgprs: 16
; ScratchSize: 0
; MemoryBound: 0
; FloatMode: 240
; IeeeMode: 1
; LDSByteSize: 448 bytes/workgroup (compile time only)
; SGPRBlocks: 2
; VGPRBlocks: 1
; NumSGPRsForWavesPerEU: 18
; NumVGPRsForWavesPerEU: 16
; Occupancy: 16
; WaveLimiterHint : 1
; COMPUTE_PGM_RSRC2:SCRATCH_EN: 0
; COMPUTE_PGM_RSRC2:USER_SGPR: 15
; COMPUTE_PGM_RSRC2:TRAP_HANDLER: 0
; COMPUTE_PGM_RSRC2:TGID_X_EN: 1
; COMPUTE_PGM_RSRC2:TGID_Y_EN: 0
; COMPUTE_PGM_RSRC2:TGID_Z_EN: 0
; COMPUTE_PGM_RSRC2:TIDIG_COMP_CNT: 0
	.section	.text._ZN9rocsparseL22gebsrmvn_mxn_16_kernelILj42ELj14ELj3E21rocsparse_complex_numIfEEEvi20rocsparse_direction_NS_24const_host_device_scalarIT2_EEPKiS8_PKS5_iiSA_S6_PS5_21rocsparse_index_base_b,"axG",@progbits,_ZN9rocsparseL22gebsrmvn_mxn_16_kernelILj42ELj14ELj3E21rocsparse_complex_numIfEEEvi20rocsparse_direction_NS_24const_host_device_scalarIT2_EEPKiS8_PKS5_iiSA_S6_PS5_21rocsparse_index_base_b,comdat
	.globl	_ZN9rocsparseL22gebsrmvn_mxn_16_kernelILj42ELj14ELj3E21rocsparse_complex_numIfEEEvi20rocsparse_direction_NS_24const_host_device_scalarIT2_EEPKiS8_PKS5_iiSA_S6_PS5_21rocsparse_index_base_b ; -- Begin function _ZN9rocsparseL22gebsrmvn_mxn_16_kernelILj42ELj14ELj3E21rocsparse_complex_numIfEEEvi20rocsparse_direction_NS_24const_host_device_scalarIT2_EEPKiS8_PKS5_iiSA_S6_PS5_21rocsparse_index_base_b
	.p2align	8
	.type	_ZN9rocsparseL22gebsrmvn_mxn_16_kernelILj42ELj14ELj3E21rocsparse_complex_numIfEEEvi20rocsparse_direction_NS_24const_host_device_scalarIT2_EEPKiS8_PKS5_iiSA_S6_PS5_21rocsparse_index_base_b,@function
_ZN9rocsparseL22gebsrmvn_mxn_16_kernelILj42ELj14ELj3E21rocsparse_complex_numIfEEEvi20rocsparse_direction_NS_24const_host_device_scalarIT2_EEPKiS8_PKS5_iiSA_S6_PS5_21rocsparse_index_base_b: ; @_ZN9rocsparseL22gebsrmvn_mxn_16_kernelILj42ELj14ELj3E21rocsparse_complex_numIfEEEvi20rocsparse_direction_NS_24const_host_device_scalarIT2_EEPKiS8_PKS5_iiSA_S6_PS5_21rocsparse_index_base_b
; %bb.0:
	s_clause 0x2
	s_load_b64 s[10:11], s[0:1], 0x48
	s_load_b64 s[4:5], s[0:1], 0x8
	;; [unrolled: 1-line block ×3, first 2 shown]
	s_mov_b32 s8, s15
	s_waitcnt lgkmcnt(0)
	s_bitcmp1_b32 s11, 0
	v_mov_b32_e32 v10, s4
	s_cselect_b32 s6, -1, 0
	s_delay_alu instid0(SALU_CYCLE_1)
	s_and_b32 vcc_lo, exec_lo, s6
	s_xor_b32 s6, s6, -1
	s_cbranch_vccz .LBB80_15
; %bb.1:
	v_cndmask_b32_e64 v1, 0, 1, s6
	v_mov_b32_e32 v11, s5
	s_and_not1_b32 vcc_lo, exec_lo, s6
	s_cbranch_vccz .LBB80_16
.LBB80_2:
	s_delay_alu instid0(VALU_DEP_2)
	v_cmp_ne_u32_e32 vcc_lo, 1, v1
	v_mov_b32_e32 v8, s2
	s_cbranch_vccz .LBB80_17
.LBB80_3:
	v_cmp_ne_u32_e32 vcc_lo, 1, v1
	v_mov_b32_e32 v9, s3
	s_cbranch_vccnz .LBB80_5
.LBB80_4:
	v_dual_mov_b32 v1, s2 :: v_dual_mov_b32 v2, s3
	flat_load_b32 v9, v[1:2] offset:4
.LBB80_5:
	s_waitcnt vmcnt(0) lgkmcnt(0)
	v_cmp_eq_f32_e32 vcc_lo, 0, v10
	v_cmp_eq_f32_e64 s2, 0, v11
	s_delay_alu instid0(VALU_DEP_1)
	s_and_b32 s4, vcc_lo, s2
	s_mov_b32 s2, -1
	s_and_saveexec_b32 s3, s4
; %bb.6:
	v_cmp_neq_f32_e32 vcc_lo, 1.0, v8
	v_cmp_neq_f32_e64 s2, 0, v9
	s_delay_alu instid0(VALU_DEP_1) | instskip(NEXT) | instid1(SALU_CYCLE_1)
	s_or_b32 s2, vcc_lo, s2
	s_or_not1_b32 s2, s2, exec_lo
; %bb.7:
	s_or_b32 exec_lo, exec_lo, s3
	s_and_saveexec_b32 s3, s2
	s_cbranch_execz .LBB80_39
; %bb.8:
	v_mul_u32_u24_e32 v1, 0x5556, v0
	s_clause 0x1
	s_load_b32 s4, s[0:1], 0x4
	s_load_b64 s[2:3], s[0:1], 0x10
	s_delay_alu instid0(VALU_DEP_1) | instskip(NEXT) | instid1(VALU_DEP_1)
	v_lshrrev_b32_e32 v1, 16, v1
	v_mul_lo_u16 v1, v1, 3
	s_delay_alu instid0(VALU_DEP_1) | instskip(NEXT) | instid1(VALU_DEP_1)
	v_sub_nc_u16 v1, v0, v1
	v_and_b32_e32 v12, 0xffff, v1
	s_waitcnt lgkmcnt(0)
	s_cmp_lg_u32 s4, 1
	v_and_b32_e32 v4, 0xffff, v0
	s_cselect_b32 s11, -1, 0
	v_mov_b32_e32 v3, v12
	s_and_b32 vcc_lo, exec_lo, s11
	s_cbranch_vccnz .LBB80_10
; %bb.9:
	v_mul_u32_u24_e32 v1, 0x124a, v4
	s_delay_alu instid0(VALU_DEP_1) | instskip(NEXT) | instid1(VALU_DEP_1)
	v_lshrrev_b32_e32 v1, 16, v1
	v_mul_lo_u16 v2, 0x56, v1
	s_delay_alu instid0(VALU_DEP_1) | instskip(NEXT) | instid1(VALU_DEP_1)
	v_lshrrev_b16 v2, 8, v2
	v_mul_lo_u16 v2, v2, 3
	s_delay_alu instid0(VALU_DEP_1) | instskip(NEXT) | instid1(VALU_DEP_1)
	v_sub_nc_u16 v1, v1, v2
	v_and_b32_e32 v3, 0xff, v1
.LBB80_10:
	s_ashr_i32 s9, s8, 31
	v_dual_mov_b32 v2, 0 :: v_dual_mov_b32 v1, 0
	s_lshl_b64 s[4:5], s[8:9], 2
	s_delay_alu instid0(SALU_CYCLE_1)
	s_add_u32 s2, s2, s4
	s_addc_u32 s3, s3, s5
	s_load_b64 s[12:13], s[2:3], 0x0
	s_load_b64 s[2:3], s[0:1], 0x40
	s_waitcnt lgkmcnt(0)
	s_cmp_ge_i32 s12, s13
	s_cbranch_scc1 .LBB80_18
; %bb.11:
	s_clause 0x1
	s_load_b128 s[4:7], s[0:1], 0x18
	s_load_b64 s[0:1], s[0:1], 0x30
	v_mad_u64_u32 v[1:2], null, s12, 42, v[0:1]
	v_mul_u32_u24_e32 v4, 0x619, v4
	v_dual_mov_b32 v2, 0 :: v_dual_mov_b32 v5, 0
	s_mul_i32 s9, s10, 42
	s_sub_i32 s12, s12, s10
	s_delay_alu instid0(VALU_DEP_2) | instskip(NEXT) | instid1(VALU_DEP_4)
	v_lshrrev_b32_e32 v13, 16, v4
	v_subrev_nc_u32_e32 v4, s9, v1
	v_mov_b32_e32 v1, v2
	s_sub_i32 s9, s13, s10
	s_set_inst_prefetch_distance 0x1
	s_branch .LBB80_13
	.p2align	6
.LBB80_12:                              ;   in Loop: Header=BB80_13 Depth=1
	s_or_b32 exec_lo, exec_lo, s13
	v_add_nc_u32_e32 v4, 42, v4
	s_add_i32 s12, s12, 1
	s_delay_alu instid0(SALU_CYCLE_1)
	s_cmp_ge_i32 s12, s9
	s_cbranch_scc1 .LBB80_18
.LBB80_13:                              ; =>This Inner Loop Header: Depth=1
	v_add_nc_u32_e32 v6, s12, v13
	s_mov_b32 s13, exec_lo
	s_delay_alu instid0(VALU_DEP_1)
	v_cmpx_gt_i32_e64 s9, v6
	s_cbranch_execz .LBB80_12
; %bb.14:                               ;   in Loop: Header=BB80_13 Depth=1
	v_ashrrev_i32_e32 v7, 31, v6
	s_delay_alu instid0(VALU_DEP_1) | instskip(SKIP_1) | instid1(VALU_DEP_1)
	v_lshlrev_b64 v[6:7], 2, v[6:7]
	s_waitcnt lgkmcnt(0)
	v_add_co_u32 v6, vcc_lo, s4, v6
	s_delay_alu instid0(VALU_DEP_2) | instskip(SKIP_3) | instid1(VALU_DEP_1)
	v_add_co_ci_u32_e32 v7, vcc_lo, s5, v7, vcc_lo
	global_load_b32 v6, v[6:7], off
	s_waitcnt vmcnt(0)
	v_subrev_nc_u32_e32 v14, s10, v6
	v_mad_u64_u32 v[6:7], null, v14, 3, v[3:4]
	v_lshlrev_b64 v[14:15], 3, v[4:5]
	s_delay_alu instid0(VALU_DEP_1) | instskip(NEXT) | instid1(VALU_DEP_3)
	v_add_co_u32 v14, vcc_lo, s6, v14
	v_ashrrev_i32_e32 v7, 31, v6
	s_delay_alu instid0(VALU_DEP_3) | instskip(NEXT) | instid1(VALU_DEP_2)
	v_add_co_ci_u32_e32 v15, vcc_lo, s7, v15, vcc_lo
	v_lshlrev_b64 v[6:7], 3, v[6:7]
	s_delay_alu instid0(VALU_DEP_1) | instskip(NEXT) | instid1(VALU_DEP_2)
	v_add_co_u32 v6, vcc_lo, s0, v6
	v_add_co_ci_u32_e32 v7, vcc_lo, s1, v7, vcc_lo
	global_load_b64 v[14:15], v[14:15], off
	global_load_b64 v[6:7], v[6:7], off
	s_waitcnt vmcnt(0)
	v_fmac_f32_e32 v1, v14, v6
	v_fmac_f32_e32 v2, v15, v6
	s_delay_alu instid0(VALU_DEP_2) | instskip(NEXT) | instid1(VALU_DEP_2)
	v_fma_f32 v1, -v15, v7, v1
	v_fmac_f32_e32 v2, v14, v7
	s_branch .LBB80_12
.LBB80_15:
	v_dual_mov_b32 v1, s4 :: v_dual_mov_b32 v2, s5
	flat_load_b32 v10, v[1:2]
	v_cndmask_b32_e64 v1, 0, 1, s6
	v_mov_b32_e32 v11, s5
	s_and_not1_b32 vcc_lo, exec_lo, s6
	s_cbranch_vccnz .LBB80_2
.LBB80_16:
	v_dual_mov_b32 v2, s4 :: v_dual_mov_b32 v3, s5
	flat_load_b32 v11, v[2:3] offset:4
	v_cmp_ne_u32_e32 vcc_lo, 1, v1
	v_mov_b32_e32 v8, s2
	s_cbranch_vccnz .LBB80_3
.LBB80_17:
	v_dual_mov_b32 v2, s2 :: v_dual_mov_b32 v3, s3
	flat_load_b32 v8, v[2:3]
	v_cmp_ne_u32_e32 vcc_lo, 1, v1
	v_mov_b32_e32 v9, s3
	s_cbranch_vccz .LBB80_4
	s_branch .LBB80_5
.LBB80_18:
	s_set_inst_prefetch_distance 0x2
	v_lshlrev_b32_e32 v5, 3, v0
	s_and_b32 vcc_lo, exec_lo, s11
	ds_store_b64 v5, v[1:2]
	s_waitcnt lgkmcnt(0)
	s_barrier
	buffer_gl0_inv
	s_cbranch_vccz .LBB80_26
; %bb.19:
	v_cmp_eq_u16_e32 vcc_lo, 0, v12
	s_and_saveexec_b32 s0, vcc_lo
	s_cbranch_execz .LBB80_21
; %bb.20:
	ds_load_2addr_b64 v[12:15], v5 offset1:2
	s_waitcnt lgkmcnt(0)
	v_dual_add_f32 v3, v14, v12 :: v_dual_add_f32 v4, v15, v13
	ds_store_b64 v5, v[3:4]
.LBB80_21:
	s_or_b32 exec_lo, exec_lo, s0
	s_waitcnt lgkmcnt(0)
	s_barrier
	buffer_gl0_inv
	s_and_saveexec_b32 s0, vcc_lo
	s_cbranch_execz .LBB80_23
; %bb.22:
	ds_load_2addr_b64 v[12:15], v5 offset1:1
	s_waitcnt lgkmcnt(0)
	v_dual_add_f32 v3, v14, v12 :: v_dual_add_f32 v4, v15, v13
	ds_store_b64 v5, v[3:4]
.LBB80_23:
	s_or_b32 exec_lo, exec_lo, s0
	v_dual_mov_b32 v4, v2 :: v_dual_mov_b32 v3, v1
	s_mov_b32 s0, exec_lo
	s_waitcnt lgkmcnt(0)
	s_barrier
	buffer_gl0_inv
	v_cmpx_gt_u32_e32 14, v0
	s_cbranch_execz .LBB80_25
; %bb.24:
	v_lshl_add_u32 v3, v0, 4, v5
	ds_load_b64 v[3:4], v3
.LBB80_25:
	s_or_b32 exec_lo, exec_lo, s0
	v_cmp_gt_u32_e64 s0, 14, v0
	s_branch .LBB80_34
.LBB80_26:
                                        ; implicit-def: $vgpr4
	v_cmp_gt_u32_e64 s0, 14, v0
	s_cbranch_execz .LBB80_34
; %bb.27:
	v_cmp_lt_u32_e32 vcc_lo, 13, v0
	s_delay_alu instid0(VALU_DEP_2)
	s_and_saveexec_b32 s1, s0
	s_cbranch_execz .LBB80_29
; %bb.28:
	ds_load_2addr_b64 v[12:15], v5 offset1:28
	s_waitcnt lgkmcnt(0)
	v_dual_add_f32 v3, v14, v12 :: v_dual_add_f32 v4, v15, v13
	ds_store_b64 v5, v[3:4]
.LBB80_29:
	s_or_b32 exec_lo, exec_lo, s1
	s_waitcnt lgkmcnt(0)
	s_barrier
	buffer_gl0_inv
	s_and_saveexec_b32 s0, vcc_lo
	s_delay_alu instid0(SALU_CYCLE_1)
	s_xor_b32 s0, exec_lo, s0
	s_cbranch_execz .LBB80_31
; %bb.30:
	buffer_gl0_inv
                                        ; implicit-def: $vgpr5
.LBB80_31:
	s_and_not1_saveexec_b32 s0, s0
	s_cbranch_execz .LBB80_33
; %bb.32:
	ds_load_2addr_b64 v[1:4], v5 offset1:14
	s_waitcnt lgkmcnt(0)
	v_dual_add_f32 v1, v3, v1 :: v_dual_add_f32 v2, v4, v2
	ds_store_b64 v5, v[1:2]
	s_waitcnt lgkmcnt(0)
	buffer_gl0_inv
	ds_load_b64 v[1:2], v5
.LBB80_33:
	s_or_b32 exec_lo, exec_lo, s0
	s_waitcnt lgkmcnt(0)
	v_dual_mov_b32 v4, v2 :: v_dual_mov_b32 v3, v1
.LBB80_34:
	v_cmp_gt_u32_e32 vcc_lo, 14, v0
	s_and_b32 exec_lo, exec_lo, vcc_lo
	s_cbranch_execz .LBB80_39
; %bb.35:
	s_waitcnt lgkmcnt(0)
	v_mul_f32_e64 v1, v4, -v11
	v_mul_f32_e32 v2, v4, v10
	v_cmp_eq_f32_e32 vcc_lo, 0, v8
	v_cmp_eq_f32_e64 s0, 0, v9
	s_delay_alu instid0(VALU_DEP_4) | instskip(NEXT) | instid1(VALU_DEP_4)
	v_fmac_f32_e32 v1, v10, v3
	v_fmac_f32_e32 v2, v11, v3
	s_delay_alu instid0(VALU_DEP_3) | instskip(NEXT) | instid1(SALU_CYCLE_1)
	s_and_b32 s0, vcc_lo, s0
	s_and_saveexec_b32 s1, s0
	s_delay_alu instid0(SALU_CYCLE_1)
	s_xor_b32 s0, exec_lo, s1
	s_cbranch_execz .LBB80_37
; %bb.36:
	v_mad_u64_u32 v[3:4], null, s8, 14, v[0:1]
	v_mov_b32_e32 v4, 0
                                        ; implicit-def: $vgpr0
                                        ; implicit-def: $vgpr8
                                        ; implicit-def: $vgpr9
	s_delay_alu instid0(VALU_DEP_1) | instskip(NEXT) | instid1(VALU_DEP_1)
	v_lshlrev_b64 v[3:4], 3, v[3:4]
	v_add_co_u32 v3, vcc_lo, s2, v3
	s_delay_alu instid0(VALU_DEP_2)
	v_add_co_ci_u32_e32 v4, vcc_lo, s3, v4, vcc_lo
	global_store_b64 v[3:4], v[1:2], off
                                        ; implicit-def: $vgpr1
.LBB80_37:
	s_and_not1_saveexec_b32 s0, s0
	s_cbranch_execz .LBB80_39
; %bb.38:
	v_mad_u64_u32 v[3:4], null, s8, 14, v[0:1]
	v_mov_b32_e32 v4, 0
	s_delay_alu instid0(VALU_DEP_1) | instskip(NEXT) | instid1(VALU_DEP_1)
	v_lshlrev_b64 v[3:4], 3, v[3:4]
	v_add_co_u32 v3, vcc_lo, s2, v3
	s_delay_alu instid0(VALU_DEP_2) | instskip(SKIP_4) | instid1(VALU_DEP_2)
	v_add_co_ci_u32_e32 v4, vcc_lo, s3, v4, vcc_lo
	global_load_b64 v[5:6], v[3:4], off
	s_waitcnt vmcnt(0)
	v_fmac_f32_e32 v1, v8, v5
	v_fmac_f32_e32 v2, v9, v5
	v_fma_f32 v1, -v9, v6, v1
	s_delay_alu instid0(VALU_DEP_2)
	v_fmac_f32_e32 v2, v8, v6
	global_store_b64 v[3:4], v[1:2], off
.LBB80_39:
	s_nop 0
	s_sendmsg sendmsg(MSG_DEALLOC_VGPRS)
	s_endpgm
	.section	.rodata,"a",@progbits
	.p2align	6, 0x0
	.amdhsa_kernel _ZN9rocsparseL22gebsrmvn_mxn_16_kernelILj42ELj14ELj3E21rocsparse_complex_numIfEEEvi20rocsparse_direction_NS_24const_host_device_scalarIT2_EEPKiS8_PKS5_iiSA_S6_PS5_21rocsparse_index_base_b
		.amdhsa_group_segment_fixed_size 336
		.amdhsa_private_segment_fixed_size 0
		.amdhsa_kernarg_size 80
		.amdhsa_user_sgpr_count 15
		.amdhsa_user_sgpr_dispatch_ptr 0
		.amdhsa_user_sgpr_queue_ptr 0
		.amdhsa_user_sgpr_kernarg_segment_ptr 1
		.amdhsa_user_sgpr_dispatch_id 0
		.amdhsa_user_sgpr_private_segment_size 0
		.amdhsa_wavefront_size32 1
		.amdhsa_uses_dynamic_stack 0
		.amdhsa_enable_private_segment 0
		.amdhsa_system_sgpr_workgroup_id_x 1
		.amdhsa_system_sgpr_workgroup_id_y 0
		.amdhsa_system_sgpr_workgroup_id_z 0
		.amdhsa_system_sgpr_workgroup_info 0
		.amdhsa_system_vgpr_workitem_id 0
		.amdhsa_next_free_vgpr 16
		.amdhsa_next_free_sgpr 16
		.amdhsa_reserve_vcc 1
		.amdhsa_float_round_mode_32 0
		.amdhsa_float_round_mode_16_64 0
		.amdhsa_float_denorm_mode_32 3
		.amdhsa_float_denorm_mode_16_64 3
		.amdhsa_dx10_clamp 1
		.amdhsa_ieee_mode 1
		.amdhsa_fp16_overflow 0
		.amdhsa_workgroup_processor_mode 1
		.amdhsa_memory_ordered 1
		.amdhsa_forward_progress 0
		.amdhsa_shared_vgpr_count 0
		.amdhsa_exception_fp_ieee_invalid_op 0
		.amdhsa_exception_fp_denorm_src 0
		.amdhsa_exception_fp_ieee_div_zero 0
		.amdhsa_exception_fp_ieee_overflow 0
		.amdhsa_exception_fp_ieee_underflow 0
		.amdhsa_exception_fp_ieee_inexact 0
		.amdhsa_exception_int_div_zero 0
	.end_amdhsa_kernel
	.section	.text._ZN9rocsparseL22gebsrmvn_mxn_16_kernelILj42ELj14ELj3E21rocsparse_complex_numIfEEEvi20rocsparse_direction_NS_24const_host_device_scalarIT2_EEPKiS8_PKS5_iiSA_S6_PS5_21rocsparse_index_base_b,"axG",@progbits,_ZN9rocsparseL22gebsrmvn_mxn_16_kernelILj42ELj14ELj3E21rocsparse_complex_numIfEEEvi20rocsparse_direction_NS_24const_host_device_scalarIT2_EEPKiS8_PKS5_iiSA_S6_PS5_21rocsparse_index_base_b,comdat
.Lfunc_end80:
	.size	_ZN9rocsparseL22gebsrmvn_mxn_16_kernelILj42ELj14ELj3E21rocsparse_complex_numIfEEEvi20rocsparse_direction_NS_24const_host_device_scalarIT2_EEPKiS8_PKS5_iiSA_S6_PS5_21rocsparse_index_base_b, .Lfunc_end80-_ZN9rocsparseL22gebsrmvn_mxn_16_kernelILj42ELj14ELj3E21rocsparse_complex_numIfEEEvi20rocsparse_direction_NS_24const_host_device_scalarIT2_EEPKiS8_PKS5_iiSA_S6_PS5_21rocsparse_index_base_b
                                        ; -- End function
	.section	.AMDGPU.csdata,"",@progbits
; Kernel info:
; codeLenInByte = 1412
; NumSgprs: 18
; NumVgprs: 16
; ScratchSize: 0
; MemoryBound: 0
; FloatMode: 240
; IeeeMode: 1
; LDSByteSize: 336 bytes/workgroup (compile time only)
; SGPRBlocks: 2
; VGPRBlocks: 1
; NumSGPRsForWavesPerEU: 18
; NumVGPRsForWavesPerEU: 16
; Occupancy: 16
; WaveLimiterHint : 1
; COMPUTE_PGM_RSRC2:SCRATCH_EN: 0
; COMPUTE_PGM_RSRC2:USER_SGPR: 15
; COMPUTE_PGM_RSRC2:TRAP_HANDLER: 0
; COMPUTE_PGM_RSRC2:TGID_X_EN: 1
; COMPUTE_PGM_RSRC2:TGID_Y_EN: 0
; COMPUTE_PGM_RSRC2:TGID_Z_EN: 0
; COMPUTE_PGM_RSRC2:TIDIG_COMP_CNT: 0
	.section	.text._ZN9rocsparseL22gebsrmvn_mxn_16_kernelILj56ELj14ELj4E21rocsparse_complex_numIfEEEvi20rocsparse_direction_NS_24const_host_device_scalarIT2_EEPKiS8_PKS5_iiSA_S6_PS5_21rocsparse_index_base_b,"axG",@progbits,_ZN9rocsparseL22gebsrmvn_mxn_16_kernelILj56ELj14ELj4E21rocsparse_complex_numIfEEEvi20rocsparse_direction_NS_24const_host_device_scalarIT2_EEPKiS8_PKS5_iiSA_S6_PS5_21rocsparse_index_base_b,comdat
	.globl	_ZN9rocsparseL22gebsrmvn_mxn_16_kernelILj56ELj14ELj4E21rocsparse_complex_numIfEEEvi20rocsparse_direction_NS_24const_host_device_scalarIT2_EEPKiS8_PKS5_iiSA_S6_PS5_21rocsparse_index_base_b ; -- Begin function _ZN9rocsparseL22gebsrmvn_mxn_16_kernelILj56ELj14ELj4E21rocsparse_complex_numIfEEEvi20rocsparse_direction_NS_24const_host_device_scalarIT2_EEPKiS8_PKS5_iiSA_S6_PS5_21rocsparse_index_base_b
	.p2align	8
	.type	_ZN9rocsparseL22gebsrmvn_mxn_16_kernelILj56ELj14ELj4E21rocsparse_complex_numIfEEEvi20rocsparse_direction_NS_24const_host_device_scalarIT2_EEPKiS8_PKS5_iiSA_S6_PS5_21rocsparse_index_base_b,@function
_ZN9rocsparseL22gebsrmvn_mxn_16_kernelILj56ELj14ELj4E21rocsparse_complex_numIfEEEvi20rocsparse_direction_NS_24const_host_device_scalarIT2_EEPKiS8_PKS5_iiSA_S6_PS5_21rocsparse_index_base_b: ; @_ZN9rocsparseL22gebsrmvn_mxn_16_kernelILj56ELj14ELj4E21rocsparse_complex_numIfEEEvi20rocsparse_direction_NS_24const_host_device_scalarIT2_EEPKiS8_PKS5_iiSA_S6_PS5_21rocsparse_index_base_b
; %bb.0:
	s_clause 0x2
	s_load_b64 s[10:11], s[0:1], 0x48
	s_load_b64 s[4:5], s[0:1], 0x8
	;; [unrolled: 1-line block ×3, first 2 shown]
	s_mov_b32 s8, s15
	s_waitcnt lgkmcnt(0)
	s_bitcmp1_b32 s11, 0
	v_mov_b32_e32 v9, s4
	s_cselect_b32 s6, -1, 0
	s_delay_alu instid0(SALU_CYCLE_1)
	s_and_b32 vcc_lo, exec_lo, s6
	s_xor_b32 s6, s6, -1
	s_cbranch_vccz .LBB81_15
; %bb.1:
	v_cndmask_b32_e64 v1, 0, 1, s6
	v_mov_b32_e32 v10, s5
	s_and_not1_b32 vcc_lo, exec_lo, s6
	s_cbranch_vccz .LBB81_16
.LBB81_2:
	s_delay_alu instid0(VALU_DEP_2)
	v_cmp_ne_u32_e32 vcc_lo, 1, v1
	v_mov_b32_e32 v7, s2
	s_cbranch_vccz .LBB81_17
.LBB81_3:
	v_cmp_ne_u32_e32 vcc_lo, 1, v1
	v_mov_b32_e32 v8, s3
	s_cbranch_vccnz .LBB81_5
.LBB81_4:
	v_dual_mov_b32 v1, s2 :: v_dual_mov_b32 v2, s3
	flat_load_b32 v8, v[1:2] offset:4
.LBB81_5:
	s_waitcnt vmcnt(0) lgkmcnt(0)
	v_cmp_eq_f32_e32 vcc_lo, 0, v9
	v_cmp_eq_f32_e64 s2, 0, v10
	s_delay_alu instid0(VALU_DEP_1)
	s_and_b32 s4, vcc_lo, s2
	s_mov_b32 s2, -1
	s_and_saveexec_b32 s3, s4
; %bb.6:
	v_cmp_neq_f32_e32 vcc_lo, 1.0, v7
	v_cmp_neq_f32_e64 s2, 0, v8
	s_delay_alu instid0(VALU_DEP_1) | instskip(NEXT) | instid1(SALU_CYCLE_1)
	s_or_b32 s2, vcc_lo, s2
	s_or_not1_b32 s2, s2, exec_lo
; %bb.7:
	s_or_b32 exec_lo, exec_lo, s3
	s_and_saveexec_b32 s3, s2
	s_cbranch_execz .LBB81_39
; %bb.8:
	s_clause 0x1
	s_load_b32 s4, s[0:1], 0x4
	s_load_b64 s[2:3], s[0:1], 0x10
	v_and_b32_e32 v11, 3, v0
	s_delay_alu instid0(VALU_DEP_1) | instskip(SKIP_3) | instid1(SALU_CYCLE_1)
	v_mov_b32_e32 v12, v11
	s_waitcnt lgkmcnt(0)
	s_cmp_lg_u32 s4, 1
	s_cselect_b32 s11, -1, 0
	s_and_b32 vcc_lo, exec_lo, s11
	s_cbranch_vccnz .LBB81_10
; %bb.9:
	v_mul_u32_u24_e32 v1, 0x124a, v0
	s_delay_alu instid0(VALU_DEP_1)
	v_bfe_u32 v12, v1, 16, 2
.LBB81_10:
	s_ashr_i32 s9, s8, 31
	v_dual_mov_b32 v2, 0 :: v_dual_mov_b32 v1, 0
	s_lshl_b64 s[4:5], s[8:9], 2
	s_delay_alu instid0(SALU_CYCLE_1)
	s_add_u32 s2, s2, s4
	s_addc_u32 s3, s3, s5
	s_load_b64 s[12:13], s[2:3], 0x0
	s_load_b64 s[2:3], s[0:1], 0x40
	s_waitcnt lgkmcnt(0)
	s_cmp_ge_i32 s12, s13
	s_cbranch_scc1 .LBB81_18
; %bb.11:
	s_clause 0x1
	s_load_b128 s[4:7], s[0:1], 0x18
	s_load_b64 s[0:1], s[0:1], 0x30
	v_mad_u64_u32 v[1:2], null, s12, 56, v[0:1]
	v_mul_u32_u24_e32 v3, 0x493, v0
	v_mov_b32_e32 v2, 0
	s_mul_i32 s9, s10, 56
	v_mov_b32_e32 v4, 0
	s_sub_i32 s12, s12, s10
	v_lshrrev_b32_e32 v13, 16, v3
	v_subrev_nc_u32_e32 v3, s9, v1
	v_mov_b32_e32 v1, v2
	s_sub_i32 s9, s13, s10
	s_set_inst_prefetch_distance 0x1
	s_branch .LBB81_13
	.p2align	6
.LBB81_12:                              ;   in Loop: Header=BB81_13 Depth=1
	s_or_b32 exec_lo, exec_lo, s13
	v_add_nc_u32_e32 v3, 56, v3
	s_add_i32 s12, s12, 1
	s_delay_alu instid0(SALU_CYCLE_1)
	s_cmp_ge_i32 s12, s9
	s_cbranch_scc1 .LBB81_18
.LBB81_13:                              ; =>This Inner Loop Header: Depth=1
	v_add_nc_u32_e32 v5, s12, v13
	s_mov_b32 s13, exec_lo
	s_delay_alu instid0(VALU_DEP_1)
	v_cmpx_gt_i32_e64 s9, v5
	s_cbranch_execz .LBB81_12
; %bb.14:                               ;   in Loop: Header=BB81_13 Depth=1
	v_ashrrev_i32_e32 v6, 31, v5
	v_lshlrev_b64 v[14:15], 3, v[3:4]
	s_delay_alu instid0(VALU_DEP_2) | instskip(SKIP_1) | instid1(VALU_DEP_1)
	v_lshlrev_b64 v[5:6], 2, v[5:6]
	s_waitcnt lgkmcnt(0)
	v_add_co_u32 v5, vcc_lo, s4, v5
	s_delay_alu instid0(VALU_DEP_2) | instskip(NEXT) | instid1(VALU_DEP_4)
	v_add_co_ci_u32_e32 v6, vcc_lo, s5, v6, vcc_lo
	v_add_co_u32 v14, vcc_lo, s6, v14
	v_add_co_ci_u32_e32 v15, vcc_lo, s7, v15, vcc_lo
	global_load_b32 v5, v[5:6], off
	s_waitcnt vmcnt(0)
	v_subrev_nc_u32_e32 v5, s10, v5
	s_delay_alu instid0(VALU_DEP_1) | instskip(NEXT) | instid1(VALU_DEP_1)
	v_lshl_or_b32 v5, v5, 2, v12
	v_ashrrev_i32_e32 v6, 31, v5
	s_delay_alu instid0(VALU_DEP_1) | instskip(NEXT) | instid1(VALU_DEP_1)
	v_lshlrev_b64 v[5:6], 3, v[5:6]
	v_add_co_u32 v5, vcc_lo, s0, v5
	s_delay_alu instid0(VALU_DEP_2)
	v_add_co_ci_u32_e32 v6, vcc_lo, s1, v6, vcc_lo
	global_load_b64 v[14:15], v[14:15], off
	global_load_b64 v[5:6], v[5:6], off
	s_waitcnt vmcnt(0)
	v_fmac_f32_e32 v1, v14, v5
	v_fmac_f32_e32 v2, v15, v5
	s_delay_alu instid0(VALU_DEP_2) | instskip(NEXT) | instid1(VALU_DEP_2)
	v_fma_f32 v1, -v15, v6, v1
	v_fmac_f32_e32 v2, v14, v6
	s_branch .LBB81_12
.LBB81_15:
	v_dual_mov_b32 v1, s4 :: v_dual_mov_b32 v2, s5
	flat_load_b32 v9, v[1:2]
	v_cndmask_b32_e64 v1, 0, 1, s6
	v_mov_b32_e32 v10, s5
	s_and_not1_b32 vcc_lo, exec_lo, s6
	s_cbranch_vccnz .LBB81_2
.LBB81_16:
	v_dual_mov_b32 v2, s4 :: v_dual_mov_b32 v3, s5
	flat_load_b32 v10, v[2:3] offset:4
	v_cmp_ne_u32_e32 vcc_lo, 1, v1
	v_mov_b32_e32 v7, s2
	s_cbranch_vccnz .LBB81_3
.LBB81_17:
	v_dual_mov_b32 v2, s2 :: v_dual_mov_b32 v3, s3
	flat_load_b32 v7, v[2:3]
	v_cmp_ne_u32_e32 vcc_lo, 1, v1
	v_mov_b32_e32 v8, s3
	s_cbranch_vccz .LBB81_4
	s_branch .LBB81_5
.LBB81_18:
	s_set_inst_prefetch_distance 0x2
	v_lshlrev_b32_e32 v5, 3, v0
	s_and_b32 vcc_lo, exec_lo, s11
	ds_store_b64 v5, v[1:2]
	s_waitcnt lgkmcnt(0)
	s_barrier
	buffer_gl0_inv
	s_cbranch_vccz .LBB81_26
; %bb.19:
	s_mov_b32 s0, exec_lo
	v_cmpx_gt_u32_e32 2, v11
	s_cbranch_execz .LBB81_21
; %bb.20:
	ds_load_2addr_b64 v[12:15], v5 offset1:2
	s_waitcnt lgkmcnt(0)
	v_dual_add_f32 v3, v14, v12 :: v_dual_add_f32 v4, v15, v13
	ds_store_b64 v5, v[3:4]
.LBB81_21:
	s_or_b32 exec_lo, exec_lo, s0
	s_delay_alu instid0(SALU_CYCLE_1)
	s_mov_b32 s0, exec_lo
	s_waitcnt lgkmcnt(0)
	s_barrier
	buffer_gl0_inv
	v_cmpx_eq_u32_e32 0, v11
	s_cbranch_execz .LBB81_23
; %bb.22:
	ds_load_2addr_b64 v[11:14], v5 offset1:1
	s_waitcnt lgkmcnt(0)
	v_dual_add_f32 v3, v13, v11 :: v_dual_add_f32 v4, v14, v12
	ds_store_b64 v5, v[3:4]
.LBB81_23:
	s_or_b32 exec_lo, exec_lo, s0
	v_dual_mov_b32 v4, v2 :: v_dual_mov_b32 v3, v1
	s_mov_b32 s0, exec_lo
	s_waitcnt lgkmcnt(0)
	s_barrier
	buffer_gl0_inv
	v_cmpx_gt_u32_e32 14, v0
	s_cbranch_execz .LBB81_25
; %bb.24:
	v_mad_u32_u24 v3, v0, 24, v5
	ds_load_b64 v[3:4], v3
.LBB81_25:
	s_or_b32 exec_lo, exec_lo, s0
	s_branch .LBB81_34
.LBB81_26:
                                        ; implicit-def: $vgpr4
	s_cbranch_execz .LBB81_34
; %bb.27:
	s_mov_b32 s0, exec_lo
	v_cmpx_gt_u32_e32 28, v0
	s_cbranch_execz .LBB81_29
; %bb.28:
	ds_load_2addr_b64 v[11:14], v5 offset1:28
	s_waitcnt lgkmcnt(0)
	v_dual_add_f32 v3, v13, v11 :: v_dual_add_f32 v4, v14, v12
	ds_store_b64 v5, v[3:4]
.LBB81_29:
	s_or_b32 exec_lo, exec_lo, s0
	s_delay_alu instid0(SALU_CYCLE_1)
	s_mov_b32 s0, exec_lo
	s_waitcnt lgkmcnt(0)
	buffer_gl0_inv
	v_cmpx_lt_u32_e32 13, v0
	s_xor_b32 s0, exec_lo, s0
	s_cbranch_execz .LBB81_31
; %bb.30:
	buffer_gl0_inv
                                        ; implicit-def: $vgpr5
.LBB81_31:
	s_and_not1_saveexec_b32 s0, s0
	s_cbranch_execz .LBB81_33
; %bb.32:
	ds_load_2addr_b64 v[1:4], v5 offset1:14
	s_waitcnt lgkmcnt(0)
	v_dual_add_f32 v1, v3, v1 :: v_dual_add_f32 v2, v4, v2
	ds_store_b64 v5, v[1:2]
	s_waitcnt lgkmcnt(0)
	buffer_gl0_inv
	ds_load_b64 v[1:2], v5
.LBB81_33:
	s_or_b32 exec_lo, exec_lo, s0
	s_waitcnt lgkmcnt(0)
	v_dual_mov_b32 v4, v2 :: v_dual_mov_b32 v3, v1
.LBB81_34:
	v_cmp_gt_u32_e32 vcc_lo, 14, v0
	s_and_b32 exec_lo, exec_lo, vcc_lo
	s_cbranch_execz .LBB81_39
; %bb.35:
	s_waitcnt lgkmcnt(0)
	v_mul_f32_e64 v1, v4, -v10
	v_mul_f32_e32 v2, v4, v9
	v_cmp_eq_f32_e32 vcc_lo, 0, v7
	v_cmp_eq_f32_e64 s0, 0, v8
	s_delay_alu instid0(VALU_DEP_4) | instskip(NEXT) | instid1(VALU_DEP_4)
	v_fmac_f32_e32 v1, v9, v3
	v_fmac_f32_e32 v2, v10, v3
	s_delay_alu instid0(VALU_DEP_3) | instskip(NEXT) | instid1(SALU_CYCLE_1)
	s_and_b32 s0, vcc_lo, s0
	s_and_saveexec_b32 s1, s0
	s_delay_alu instid0(SALU_CYCLE_1)
	s_xor_b32 s0, exec_lo, s1
	s_cbranch_execz .LBB81_37
; %bb.36:
	v_mad_u64_u32 v[3:4], null, s8, 14, v[0:1]
	v_mov_b32_e32 v4, 0
                                        ; implicit-def: $vgpr0
                                        ; implicit-def: $vgpr7
                                        ; implicit-def: $vgpr8
	s_delay_alu instid0(VALU_DEP_1) | instskip(NEXT) | instid1(VALU_DEP_1)
	v_lshlrev_b64 v[3:4], 3, v[3:4]
	v_add_co_u32 v3, vcc_lo, s2, v3
	s_delay_alu instid0(VALU_DEP_2)
	v_add_co_ci_u32_e32 v4, vcc_lo, s3, v4, vcc_lo
	global_store_b64 v[3:4], v[1:2], off
                                        ; implicit-def: $vgpr1
.LBB81_37:
	s_and_not1_saveexec_b32 s0, s0
	s_cbranch_execz .LBB81_39
; %bb.38:
	v_mad_u64_u32 v[3:4], null, s8, 14, v[0:1]
	v_mov_b32_e32 v4, 0
	s_delay_alu instid0(VALU_DEP_1) | instskip(NEXT) | instid1(VALU_DEP_1)
	v_lshlrev_b64 v[3:4], 3, v[3:4]
	v_add_co_u32 v3, vcc_lo, s2, v3
	s_delay_alu instid0(VALU_DEP_2) | instskip(SKIP_4) | instid1(VALU_DEP_2)
	v_add_co_ci_u32_e32 v4, vcc_lo, s3, v4, vcc_lo
	global_load_b64 v[5:6], v[3:4], off
	s_waitcnt vmcnt(0)
	v_fmac_f32_e32 v1, v7, v5
	v_fmac_f32_e32 v2, v8, v5
	v_fma_f32 v1, -v8, v6, v1
	s_delay_alu instid0(VALU_DEP_2)
	v_fmac_f32_e32 v2, v7, v6
	global_store_b64 v[3:4], v[1:2], off
.LBB81_39:
	s_nop 0
	s_sendmsg sendmsg(MSG_DEALLOC_VGPRS)
	s_endpgm
	.section	.rodata,"a",@progbits
	.p2align	6, 0x0
	.amdhsa_kernel _ZN9rocsparseL22gebsrmvn_mxn_16_kernelILj56ELj14ELj4E21rocsparse_complex_numIfEEEvi20rocsparse_direction_NS_24const_host_device_scalarIT2_EEPKiS8_PKS5_iiSA_S6_PS5_21rocsparse_index_base_b
		.amdhsa_group_segment_fixed_size 448
		.amdhsa_private_segment_fixed_size 0
		.amdhsa_kernarg_size 80
		.amdhsa_user_sgpr_count 15
		.amdhsa_user_sgpr_dispatch_ptr 0
		.amdhsa_user_sgpr_queue_ptr 0
		.amdhsa_user_sgpr_kernarg_segment_ptr 1
		.amdhsa_user_sgpr_dispatch_id 0
		.amdhsa_user_sgpr_private_segment_size 0
		.amdhsa_wavefront_size32 1
		.amdhsa_uses_dynamic_stack 0
		.amdhsa_enable_private_segment 0
		.amdhsa_system_sgpr_workgroup_id_x 1
		.amdhsa_system_sgpr_workgroup_id_y 0
		.amdhsa_system_sgpr_workgroup_id_z 0
		.amdhsa_system_sgpr_workgroup_info 0
		.amdhsa_system_vgpr_workitem_id 0
		.amdhsa_next_free_vgpr 16
		.amdhsa_next_free_sgpr 16
		.amdhsa_reserve_vcc 1
		.amdhsa_float_round_mode_32 0
		.amdhsa_float_round_mode_16_64 0
		.amdhsa_float_denorm_mode_32 3
		.amdhsa_float_denorm_mode_16_64 3
		.amdhsa_dx10_clamp 1
		.amdhsa_ieee_mode 1
		.amdhsa_fp16_overflow 0
		.amdhsa_workgroup_processor_mode 1
		.amdhsa_memory_ordered 1
		.amdhsa_forward_progress 0
		.amdhsa_shared_vgpr_count 0
		.amdhsa_exception_fp_ieee_invalid_op 0
		.amdhsa_exception_fp_denorm_src 0
		.amdhsa_exception_fp_ieee_div_zero 0
		.amdhsa_exception_fp_ieee_overflow 0
		.amdhsa_exception_fp_ieee_underflow 0
		.amdhsa_exception_fp_ieee_inexact 0
		.amdhsa_exception_int_div_zero 0
	.end_amdhsa_kernel
	.section	.text._ZN9rocsparseL22gebsrmvn_mxn_16_kernelILj56ELj14ELj4E21rocsparse_complex_numIfEEEvi20rocsparse_direction_NS_24const_host_device_scalarIT2_EEPKiS8_PKS5_iiSA_S6_PS5_21rocsparse_index_base_b,"axG",@progbits,_ZN9rocsparseL22gebsrmvn_mxn_16_kernelILj56ELj14ELj4E21rocsparse_complex_numIfEEEvi20rocsparse_direction_NS_24const_host_device_scalarIT2_EEPKiS8_PKS5_iiSA_S6_PS5_21rocsparse_index_base_b,comdat
.Lfunc_end81:
	.size	_ZN9rocsparseL22gebsrmvn_mxn_16_kernelILj56ELj14ELj4E21rocsparse_complex_numIfEEEvi20rocsparse_direction_NS_24const_host_device_scalarIT2_EEPKiS8_PKS5_iiSA_S6_PS5_21rocsparse_index_base_b, .Lfunc_end81-_ZN9rocsparseL22gebsrmvn_mxn_16_kernelILj56ELj14ELj4E21rocsparse_complex_numIfEEEvi20rocsparse_direction_NS_24const_host_device_scalarIT2_EEPKiS8_PKS5_iiSA_S6_PS5_21rocsparse_index_base_b
                                        ; -- End function
	.section	.AMDGPU.csdata,"",@progbits
; Kernel info:
; codeLenInByte = 1304
; NumSgprs: 18
; NumVgprs: 16
; ScratchSize: 0
; MemoryBound: 0
; FloatMode: 240
; IeeeMode: 1
; LDSByteSize: 448 bytes/workgroup (compile time only)
; SGPRBlocks: 2
; VGPRBlocks: 1
; NumSGPRsForWavesPerEU: 18
; NumVGPRsForWavesPerEU: 16
; Occupancy: 16
; WaveLimiterHint : 1
; COMPUTE_PGM_RSRC2:SCRATCH_EN: 0
; COMPUTE_PGM_RSRC2:USER_SGPR: 15
; COMPUTE_PGM_RSRC2:TRAP_HANDLER: 0
; COMPUTE_PGM_RSRC2:TGID_X_EN: 1
; COMPUTE_PGM_RSRC2:TGID_Y_EN: 0
; COMPUTE_PGM_RSRC2:TGID_Z_EN: 0
; COMPUTE_PGM_RSRC2:TIDIG_COMP_CNT: 0
	.section	.text._ZN9rocsparseL22gebsrmvn_mxn_16_kernelILj70ELj14ELj5E21rocsparse_complex_numIfEEEvi20rocsparse_direction_NS_24const_host_device_scalarIT2_EEPKiS8_PKS5_iiSA_S6_PS5_21rocsparse_index_base_b,"axG",@progbits,_ZN9rocsparseL22gebsrmvn_mxn_16_kernelILj70ELj14ELj5E21rocsparse_complex_numIfEEEvi20rocsparse_direction_NS_24const_host_device_scalarIT2_EEPKiS8_PKS5_iiSA_S6_PS5_21rocsparse_index_base_b,comdat
	.globl	_ZN9rocsparseL22gebsrmvn_mxn_16_kernelILj70ELj14ELj5E21rocsparse_complex_numIfEEEvi20rocsparse_direction_NS_24const_host_device_scalarIT2_EEPKiS8_PKS5_iiSA_S6_PS5_21rocsparse_index_base_b ; -- Begin function _ZN9rocsparseL22gebsrmvn_mxn_16_kernelILj70ELj14ELj5E21rocsparse_complex_numIfEEEvi20rocsparse_direction_NS_24const_host_device_scalarIT2_EEPKiS8_PKS5_iiSA_S6_PS5_21rocsparse_index_base_b
	.p2align	8
	.type	_ZN9rocsparseL22gebsrmvn_mxn_16_kernelILj70ELj14ELj5E21rocsparse_complex_numIfEEEvi20rocsparse_direction_NS_24const_host_device_scalarIT2_EEPKiS8_PKS5_iiSA_S6_PS5_21rocsparse_index_base_b,@function
_ZN9rocsparseL22gebsrmvn_mxn_16_kernelILj70ELj14ELj5E21rocsparse_complex_numIfEEEvi20rocsparse_direction_NS_24const_host_device_scalarIT2_EEPKiS8_PKS5_iiSA_S6_PS5_21rocsparse_index_base_b: ; @_ZN9rocsparseL22gebsrmvn_mxn_16_kernelILj70ELj14ELj5E21rocsparse_complex_numIfEEEvi20rocsparse_direction_NS_24const_host_device_scalarIT2_EEPKiS8_PKS5_iiSA_S6_PS5_21rocsparse_index_base_b
; %bb.0:
	s_clause 0x2
	s_load_b64 s[10:11], s[0:1], 0x48
	s_load_b64 s[4:5], s[0:1], 0x8
	;; [unrolled: 1-line block ×3, first 2 shown]
	s_mov_b32 s8, s15
	s_waitcnt lgkmcnt(0)
	s_bitcmp1_b32 s11, 0
	v_mov_b32_e32 v10, s4
	s_cselect_b32 s6, -1, 0
	s_delay_alu instid0(SALU_CYCLE_1)
	s_and_b32 vcc_lo, exec_lo, s6
	s_xor_b32 s6, s6, -1
	s_cbranch_vccz .LBB82_15
; %bb.1:
	v_cndmask_b32_e64 v1, 0, 1, s6
	v_mov_b32_e32 v11, s5
	s_and_not1_b32 vcc_lo, exec_lo, s6
	s_cbranch_vccz .LBB82_16
.LBB82_2:
	s_delay_alu instid0(VALU_DEP_2)
	v_cmp_ne_u32_e32 vcc_lo, 1, v1
	v_mov_b32_e32 v8, s2
	s_cbranch_vccz .LBB82_17
.LBB82_3:
	v_cmp_ne_u32_e32 vcc_lo, 1, v1
	v_mov_b32_e32 v9, s3
	s_cbranch_vccnz .LBB82_5
.LBB82_4:
	v_dual_mov_b32 v1, s2 :: v_dual_mov_b32 v2, s3
	flat_load_b32 v9, v[1:2] offset:4
.LBB82_5:
	s_waitcnt vmcnt(0) lgkmcnt(0)
	v_cmp_eq_f32_e32 vcc_lo, 0, v10
	v_cmp_eq_f32_e64 s2, 0, v11
	s_delay_alu instid0(VALU_DEP_1)
	s_and_b32 s4, vcc_lo, s2
	s_mov_b32 s2, -1
	s_and_saveexec_b32 s3, s4
; %bb.6:
	v_cmp_neq_f32_e32 vcc_lo, 1.0, v8
	v_cmp_neq_f32_e64 s2, 0, v9
	s_delay_alu instid0(VALU_DEP_1) | instskip(NEXT) | instid1(SALU_CYCLE_1)
	s_or_b32 s2, vcc_lo, s2
	s_or_not1_b32 s2, s2, exec_lo
; %bb.7:
	s_or_b32 exec_lo, exec_lo, s3
	s_and_saveexec_b32 s3, s2
	s_cbranch_execz .LBB82_43
; %bb.8:
	v_mul_u32_u24_e32 v1, 0x3334, v0
	s_clause 0x1
	s_load_b32 s4, s[0:1], 0x4
	s_load_b64 s[2:3], s[0:1], 0x10
	s_delay_alu instid0(VALU_DEP_1) | instskip(NEXT) | instid1(VALU_DEP_1)
	v_lshrrev_b32_e32 v1, 16, v1
	v_mul_lo_u16 v1, v1, 5
	s_delay_alu instid0(VALU_DEP_1) | instskip(NEXT) | instid1(VALU_DEP_1)
	v_sub_nc_u16 v1, v0, v1
	v_and_b32_e32 v12, 0xffff, v1
	s_waitcnt lgkmcnt(0)
	s_cmp_lg_u32 s4, 1
	v_and_b32_e32 v4, 0xffff, v0
	s_cselect_b32 s11, -1, 0
	v_mov_b32_e32 v3, v12
	s_and_b32 vcc_lo, exec_lo, s11
	s_cbranch_vccnz .LBB82_10
; %bb.9:
	v_mul_u32_u24_e32 v1, 0x124a, v4
	s_delay_alu instid0(VALU_DEP_1) | instskip(NEXT) | instid1(VALU_DEP_1)
	v_lshrrev_b32_e32 v1, 16, v1
	v_mul_lo_u16 v2, v1, 52
	s_delay_alu instid0(VALU_DEP_1) | instskip(NEXT) | instid1(VALU_DEP_1)
	v_lshrrev_b16 v2, 8, v2
	v_mul_lo_u16 v2, v2, 5
	s_delay_alu instid0(VALU_DEP_1) | instskip(NEXT) | instid1(VALU_DEP_1)
	v_sub_nc_u16 v1, v1, v2
	v_and_b32_e32 v3, 0xff, v1
.LBB82_10:
	s_ashr_i32 s9, s8, 31
	v_dual_mov_b32 v2, 0 :: v_dual_mov_b32 v1, 0
	s_lshl_b64 s[4:5], s[8:9], 2
	s_delay_alu instid0(SALU_CYCLE_1)
	s_add_u32 s2, s2, s4
	s_addc_u32 s3, s3, s5
	s_load_b64 s[12:13], s[2:3], 0x0
	s_load_b64 s[2:3], s[0:1], 0x40
	s_waitcnt lgkmcnt(0)
	s_cmp_ge_i32 s12, s13
	s_cbranch_scc1 .LBB82_18
; %bb.11:
	s_clause 0x1
	s_load_b128 s[4:7], s[0:1], 0x18
	s_load_b64 s[0:1], s[0:1], 0x30
	v_mad_u64_u32 v[1:2], null, 0x46, s12, v[0:1]
	v_mul_u32_u24_e32 v4, 0x3a9, v4
	v_dual_mov_b32 v2, 0 :: v_dual_mov_b32 v5, 0
	s_mul_i32 s9, s10, 0x46
	s_sub_i32 s12, s12, s10
	s_delay_alu instid0(VALU_DEP_2) | instskip(NEXT) | instid1(VALU_DEP_4)
	v_lshrrev_b32_e32 v13, 16, v4
	v_subrev_nc_u32_e32 v4, s9, v1
	v_mov_b32_e32 v1, v2
	s_sub_i32 s9, s13, s10
	s_set_inst_prefetch_distance 0x1
	s_branch .LBB82_13
	.p2align	6
.LBB82_12:                              ;   in Loop: Header=BB82_13 Depth=1
	s_or_b32 exec_lo, exec_lo, s13
	v_add_nc_u32_e32 v4, 0x46, v4
	s_add_i32 s12, s12, 1
	s_delay_alu instid0(SALU_CYCLE_1)
	s_cmp_ge_i32 s12, s9
	s_cbranch_scc1 .LBB82_18
.LBB82_13:                              ; =>This Inner Loop Header: Depth=1
	v_add_nc_u32_e32 v6, s12, v13
	s_mov_b32 s13, exec_lo
	s_delay_alu instid0(VALU_DEP_1)
	v_cmpx_gt_i32_e64 s9, v6
	s_cbranch_execz .LBB82_12
; %bb.14:                               ;   in Loop: Header=BB82_13 Depth=1
	v_ashrrev_i32_e32 v7, 31, v6
	s_delay_alu instid0(VALU_DEP_1) | instskip(SKIP_1) | instid1(VALU_DEP_1)
	v_lshlrev_b64 v[6:7], 2, v[6:7]
	s_waitcnt lgkmcnt(0)
	v_add_co_u32 v6, vcc_lo, s4, v6
	s_delay_alu instid0(VALU_DEP_2) | instskip(SKIP_3) | instid1(VALU_DEP_1)
	v_add_co_ci_u32_e32 v7, vcc_lo, s5, v7, vcc_lo
	global_load_b32 v6, v[6:7], off
	s_waitcnt vmcnt(0)
	v_subrev_nc_u32_e32 v14, s10, v6
	v_mad_u64_u32 v[6:7], null, v14, 5, v[3:4]
	v_lshlrev_b64 v[14:15], 3, v[4:5]
	s_delay_alu instid0(VALU_DEP_1) | instskip(NEXT) | instid1(VALU_DEP_3)
	v_add_co_u32 v14, vcc_lo, s6, v14
	v_ashrrev_i32_e32 v7, 31, v6
	s_delay_alu instid0(VALU_DEP_3) | instskip(NEXT) | instid1(VALU_DEP_2)
	v_add_co_ci_u32_e32 v15, vcc_lo, s7, v15, vcc_lo
	v_lshlrev_b64 v[6:7], 3, v[6:7]
	s_delay_alu instid0(VALU_DEP_1) | instskip(NEXT) | instid1(VALU_DEP_2)
	v_add_co_u32 v6, vcc_lo, s0, v6
	v_add_co_ci_u32_e32 v7, vcc_lo, s1, v7, vcc_lo
	global_load_b64 v[14:15], v[14:15], off
	global_load_b64 v[6:7], v[6:7], off
	s_waitcnt vmcnt(0)
	v_fmac_f32_e32 v1, v14, v6
	v_fmac_f32_e32 v2, v15, v6
	s_delay_alu instid0(VALU_DEP_2) | instskip(NEXT) | instid1(VALU_DEP_2)
	v_fma_f32 v1, -v15, v7, v1
	v_fmac_f32_e32 v2, v14, v7
	s_branch .LBB82_12
.LBB82_15:
	v_dual_mov_b32 v1, s4 :: v_dual_mov_b32 v2, s5
	flat_load_b32 v10, v[1:2]
	v_cndmask_b32_e64 v1, 0, 1, s6
	v_mov_b32_e32 v11, s5
	s_and_not1_b32 vcc_lo, exec_lo, s6
	s_cbranch_vccnz .LBB82_2
.LBB82_16:
	v_dual_mov_b32 v2, s4 :: v_dual_mov_b32 v3, s5
	flat_load_b32 v11, v[2:3] offset:4
	v_cmp_ne_u32_e32 vcc_lo, 1, v1
	v_mov_b32_e32 v8, s2
	s_cbranch_vccnz .LBB82_3
.LBB82_17:
	v_dual_mov_b32 v2, s2 :: v_dual_mov_b32 v3, s3
	flat_load_b32 v8, v[2:3]
	v_cmp_ne_u32_e32 vcc_lo, 1, v1
	v_mov_b32_e32 v9, s3
	s_cbranch_vccz .LBB82_4
	s_branch .LBB82_5
.LBB82_18:
	s_set_inst_prefetch_distance 0x2
	v_lshlrev_b32_e32 v5, 3, v0
	s_and_b32 vcc_lo, exec_lo, s11
	ds_store_b64 v5, v[1:2]
	s_waitcnt lgkmcnt(0)
	s_barrier
	buffer_gl0_inv
	s_cbranch_vccz .LBB82_28
; %bb.19:
	v_cmp_eq_u16_e32 vcc_lo, 0, v12
	s_and_saveexec_b32 s0, vcc_lo
	s_cbranch_execz .LBB82_21
; %bb.20:
	ds_load_2addr_b64 v[13:16], v5 offset1:4
	s_waitcnt lgkmcnt(0)
	v_dual_add_f32 v3, v15, v13 :: v_dual_add_f32 v4, v16, v14
	ds_store_b64 v5, v[3:4]
.LBB82_21:
	s_or_b32 exec_lo, exec_lo, s0
	s_delay_alu instid0(SALU_CYCLE_1)
	s_mov_b32 s1, exec_lo
	s_waitcnt lgkmcnt(0)
	s_barrier
	buffer_gl0_inv
	v_cmpx_gt_u16_e32 2, v12
	s_cbranch_execz .LBB82_23
; %bb.22:
	ds_load_2addr_b64 v[12:15], v5 offset1:2
	s_waitcnt lgkmcnt(0)
	v_dual_add_f32 v3, v14, v12 :: v_dual_add_f32 v4, v15, v13
	ds_store_b64 v5, v[3:4]
.LBB82_23:
	s_or_b32 exec_lo, exec_lo, s1
	s_waitcnt lgkmcnt(0)
	s_barrier
	buffer_gl0_inv
	s_and_saveexec_b32 s0, vcc_lo
	s_cbranch_execz .LBB82_25
; %bb.24:
	ds_load_2addr_b64 v[12:15], v5 offset1:1
	s_waitcnt lgkmcnt(0)
	v_dual_add_f32 v3, v14, v12 :: v_dual_add_f32 v4, v15, v13
	ds_store_b64 v5, v[3:4]
.LBB82_25:
	s_or_b32 exec_lo, exec_lo, s0
	v_dual_mov_b32 v4, v2 :: v_dual_mov_b32 v3, v1
	s_mov_b32 s0, exec_lo
	s_waitcnt lgkmcnt(0)
	s_barrier
	buffer_gl0_inv
	v_cmpx_gt_u32_e32 14, v0
	s_cbranch_execz .LBB82_27
; %bb.26:
	v_lshl_add_u32 v3, v0, 5, v5
	ds_load_b64 v[3:4], v3
.LBB82_27:
	s_or_b32 exec_lo, exec_lo, s0
	v_cmp_gt_u32_e64 s0, 14, v0
	s_branch .LBB82_38
.LBB82_28:
                                        ; implicit-def: $vgpr4
	v_cmp_gt_u32_e64 s0, 14, v0
	s_cbranch_execz .LBB82_38
; %bb.29:
	v_cmp_lt_u32_e32 vcc_lo, 13, v0
	s_delay_alu instid0(VALU_DEP_2)
	s_and_saveexec_b32 s1, s0
	s_cbranch_execz .LBB82_31
; %bb.30:
	ds_load_2addr_b64 v[12:15], v5 offset1:56
	s_waitcnt lgkmcnt(0)
	v_dual_add_f32 v3, v14, v12 :: v_dual_add_f32 v4, v15, v13
	ds_store_b64 v5, v[3:4]
.LBB82_31:
	s_or_b32 exec_lo, exec_lo, s1
	s_delay_alu instid0(SALU_CYCLE_1)
	s_mov_b32 s1, exec_lo
	s_waitcnt lgkmcnt(0)
	s_barrier
	buffer_gl0_inv
	v_cmpx_gt_u32_e32 28, v0
	s_cbranch_execz .LBB82_33
; %bb.32:
	ds_load_2addr_b64 v[12:15], v5 offset1:28
	s_waitcnt lgkmcnt(0)
	v_dual_add_f32 v3, v14, v12 :: v_dual_add_f32 v4, v15, v13
	ds_store_b64 v5, v[3:4]
.LBB82_33:
	s_or_b32 exec_lo, exec_lo, s1
	s_waitcnt lgkmcnt(0)
	buffer_gl0_inv
	s_and_saveexec_b32 s0, vcc_lo
	s_delay_alu instid0(SALU_CYCLE_1)
	s_xor_b32 s0, exec_lo, s0
	s_cbranch_execz .LBB82_35
; %bb.34:
	buffer_gl0_inv
                                        ; implicit-def: $vgpr5
.LBB82_35:
	s_and_not1_saveexec_b32 s0, s0
	s_cbranch_execz .LBB82_37
; %bb.36:
	ds_load_2addr_b64 v[1:4], v5 offset1:14
	s_waitcnt lgkmcnt(0)
	v_dual_add_f32 v1, v3, v1 :: v_dual_add_f32 v2, v4, v2
	ds_store_b64 v5, v[1:2]
	s_waitcnt lgkmcnt(0)
	buffer_gl0_inv
	ds_load_b64 v[1:2], v5
.LBB82_37:
	s_or_b32 exec_lo, exec_lo, s0
	s_waitcnt lgkmcnt(0)
	v_dual_mov_b32 v4, v2 :: v_dual_mov_b32 v3, v1
.LBB82_38:
	v_cmp_gt_u32_e32 vcc_lo, 14, v0
	s_and_b32 exec_lo, exec_lo, vcc_lo
	s_cbranch_execz .LBB82_43
; %bb.39:
	s_waitcnt lgkmcnt(0)
	v_mul_f32_e64 v1, v4, -v11
	v_mul_f32_e32 v2, v4, v10
	v_cmp_eq_f32_e32 vcc_lo, 0, v8
	v_cmp_eq_f32_e64 s0, 0, v9
	s_delay_alu instid0(VALU_DEP_4) | instskip(NEXT) | instid1(VALU_DEP_4)
	v_fmac_f32_e32 v1, v10, v3
	v_fmac_f32_e32 v2, v11, v3
	s_delay_alu instid0(VALU_DEP_3) | instskip(NEXT) | instid1(SALU_CYCLE_1)
	s_and_b32 s0, vcc_lo, s0
	s_and_saveexec_b32 s1, s0
	s_delay_alu instid0(SALU_CYCLE_1)
	s_xor_b32 s0, exec_lo, s1
	s_cbranch_execz .LBB82_41
; %bb.40:
	v_mad_u64_u32 v[3:4], null, s8, 14, v[0:1]
	v_mov_b32_e32 v4, 0
                                        ; implicit-def: $vgpr0
                                        ; implicit-def: $vgpr8
                                        ; implicit-def: $vgpr9
	s_delay_alu instid0(VALU_DEP_1) | instskip(NEXT) | instid1(VALU_DEP_1)
	v_lshlrev_b64 v[3:4], 3, v[3:4]
	v_add_co_u32 v3, vcc_lo, s2, v3
	s_delay_alu instid0(VALU_DEP_2)
	v_add_co_ci_u32_e32 v4, vcc_lo, s3, v4, vcc_lo
	global_store_b64 v[3:4], v[1:2], off
                                        ; implicit-def: $vgpr1
.LBB82_41:
	s_and_not1_saveexec_b32 s0, s0
	s_cbranch_execz .LBB82_43
; %bb.42:
	v_mad_u64_u32 v[3:4], null, s8, 14, v[0:1]
	v_mov_b32_e32 v4, 0
	s_delay_alu instid0(VALU_DEP_1) | instskip(NEXT) | instid1(VALU_DEP_1)
	v_lshlrev_b64 v[3:4], 3, v[3:4]
	v_add_co_u32 v3, vcc_lo, s2, v3
	s_delay_alu instid0(VALU_DEP_2) | instskip(SKIP_4) | instid1(VALU_DEP_2)
	v_add_co_ci_u32_e32 v4, vcc_lo, s3, v4, vcc_lo
	global_load_b64 v[5:6], v[3:4], off
	s_waitcnt vmcnt(0)
	v_fmac_f32_e32 v1, v8, v5
	v_fmac_f32_e32 v2, v9, v5
	v_fma_f32 v1, -v9, v6, v1
	s_delay_alu instid0(VALU_DEP_2)
	v_fmac_f32_e32 v2, v8, v6
	global_store_b64 v[3:4], v[1:2], off
.LBB82_43:
	s_nop 0
	s_sendmsg sendmsg(MSG_DEALLOC_VGPRS)
	s_endpgm
	.section	.rodata,"a",@progbits
	.p2align	6, 0x0
	.amdhsa_kernel _ZN9rocsparseL22gebsrmvn_mxn_16_kernelILj70ELj14ELj5E21rocsparse_complex_numIfEEEvi20rocsparse_direction_NS_24const_host_device_scalarIT2_EEPKiS8_PKS5_iiSA_S6_PS5_21rocsparse_index_base_b
		.amdhsa_group_segment_fixed_size 560
		.amdhsa_private_segment_fixed_size 0
		.amdhsa_kernarg_size 80
		.amdhsa_user_sgpr_count 15
		.amdhsa_user_sgpr_dispatch_ptr 0
		.amdhsa_user_sgpr_queue_ptr 0
		.amdhsa_user_sgpr_kernarg_segment_ptr 1
		.amdhsa_user_sgpr_dispatch_id 0
		.amdhsa_user_sgpr_private_segment_size 0
		.amdhsa_wavefront_size32 1
		.amdhsa_uses_dynamic_stack 0
		.amdhsa_enable_private_segment 0
		.amdhsa_system_sgpr_workgroup_id_x 1
		.amdhsa_system_sgpr_workgroup_id_y 0
		.amdhsa_system_sgpr_workgroup_id_z 0
		.amdhsa_system_sgpr_workgroup_info 0
		.amdhsa_system_vgpr_workitem_id 0
		.amdhsa_next_free_vgpr 17
		.amdhsa_next_free_sgpr 16
		.amdhsa_reserve_vcc 1
		.amdhsa_float_round_mode_32 0
		.amdhsa_float_round_mode_16_64 0
		.amdhsa_float_denorm_mode_32 3
		.amdhsa_float_denorm_mode_16_64 3
		.amdhsa_dx10_clamp 1
		.amdhsa_ieee_mode 1
		.amdhsa_fp16_overflow 0
		.amdhsa_workgroup_processor_mode 1
		.amdhsa_memory_ordered 1
		.amdhsa_forward_progress 0
		.amdhsa_shared_vgpr_count 0
		.amdhsa_exception_fp_ieee_invalid_op 0
		.amdhsa_exception_fp_denorm_src 0
		.amdhsa_exception_fp_ieee_div_zero 0
		.amdhsa_exception_fp_ieee_overflow 0
		.amdhsa_exception_fp_ieee_underflow 0
		.amdhsa_exception_fp_ieee_inexact 0
		.amdhsa_exception_int_div_zero 0
	.end_amdhsa_kernel
	.section	.text._ZN9rocsparseL22gebsrmvn_mxn_16_kernelILj70ELj14ELj5E21rocsparse_complex_numIfEEEvi20rocsparse_direction_NS_24const_host_device_scalarIT2_EEPKiS8_PKS5_iiSA_S6_PS5_21rocsparse_index_base_b,"axG",@progbits,_ZN9rocsparseL22gebsrmvn_mxn_16_kernelILj70ELj14ELj5E21rocsparse_complex_numIfEEEvi20rocsparse_direction_NS_24const_host_device_scalarIT2_EEPKiS8_PKS5_iiSA_S6_PS5_21rocsparse_index_base_b,comdat
.Lfunc_end82:
	.size	_ZN9rocsparseL22gebsrmvn_mxn_16_kernelILj70ELj14ELj5E21rocsparse_complex_numIfEEEvi20rocsparse_direction_NS_24const_host_device_scalarIT2_EEPKiS8_PKS5_iiSA_S6_PS5_21rocsparse_index_base_b, .Lfunc_end82-_ZN9rocsparseL22gebsrmvn_mxn_16_kernelILj70ELj14ELj5E21rocsparse_complex_numIfEEEvi20rocsparse_direction_NS_24const_host_device_scalarIT2_EEPKiS8_PKS5_iiSA_S6_PS5_21rocsparse_index_base_b
                                        ; -- End function
	.section	.AMDGPU.csdata,"",@progbits
; Kernel info:
; codeLenInByte = 1544
; NumSgprs: 18
; NumVgprs: 17
; ScratchSize: 0
; MemoryBound: 0
; FloatMode: 240
; IeeeMode: 1
; LDSByteSize: 560 bytes/workgroup (compile time only)
; SGPRBlocks: 2
; VGPRBlocks: 2
; NumSGPRsForWavesPerEU: 18
; NumVGPRsForWavesPerEU: 17
; Occupancy: 16
; WaveLimiterHint : 1
; COMPUTE_PGM_RSRC2:SCRATCH_EN: 0
; COMPUTE_PGM_RSRC2:USER_SGPR: 15
; COMPUTE_PGM_RSRC2:TRAP_HANDLER: 0
; COMPUTE_PGM_RSRC2:TGID_X_EN: 1
; COMPUTE_PGM_RSRC2:TGID_Y_EN: 0
; COMPUTE_PGM_RSRC2:TGID_Z_EN: 0
; COMPUTE_PGM_RSRC2:TIDIG_COMP_CNT: 0
	.section	.text._ZN9rocsparseL22gebsrmvn_mxn_16_kernelILj84ELj14ELj6E21rocsparse_complex_numIfEEEvi20rocsparse_direction_NS_24const_host_device_scalarIT2_EEPKiS8_PKS5_iiSA_S6_PS5_21rocsparse_index_base_b,"axG",@progbits,_ZN9rocsparseL22gebsrmvn_mxn_16_kernelILj84ELj14ELj6E21rocsparse_complex_numIfEEEvi20rocsparse_direction_NS_24const_host_device_scalarIT2_EEPKiS8_PKS5_iiSA_S6_PS5_21rocsparse_index_base_b,comdat
	.globl	_ZN9rocsparseL22gebsrmvn_mxn_16_kernelILj84ELj14ELj6E21rocsparse_complex_numIfEEEvi20rocsparse_direction_NS_24const_host_device_scalarIT2_EEPKiS8_PKS5_iiSA_S6_PS5_21rocsparse_index_base_b ; -- Begin function _ZN9rocsparseL22gebsrmvn_mxn_16_kernelILj84ELj14ELj6E21rocsparse_complex_numIfEEEvi20rocsparse_direction_NS_24const_host_device_scalarIT2_EEPKiS8_PKS5_iiSA_S6_PS5_21rocsparse_index_base_b
	.p2align	8
	.type	_ZN9rocsparseL22gebsrmvn_mxn_16_kernelILj84ELj14ELj6E21rocsparse_complex_numIfEEEvi20rocsparse_direction_NS_24const_host_device_scalarIT2_EEPKiS8_PKS5_iiSA_S6_PS5_21rocsparse_index_base_b,@function
_ZN9rocsparseL22gebsrmvn_mxn_16_kernelILj84ELj14ELj6E21rocsparse_complex_numIfEEEvi20rocsparse_direction_NS_24const_host_device_scalarIT2_EEPKiS8_PKS5_iiSA_S6_PS5_21rocsparse_index_base_b: ; @_ZN9rocsparseL22gebsrmvn_mxn_16_kernelILj84ELj14ELj6E21rocsparse_complex_numIfEEEvi20rocsparse_direction_NS_24const_host_device_scalarIT2_EEPKiS8_PKS5_iiSA_S6_PS5_21rocsparse_index_base_b
; %bb.0:
	s_clause 0x2
	s_load_b64 s[10:11], s[0:1], 0x48
	s_load_b64 s[4:5], s[0:1], 0x8
	;; [unrolled: 1-line block ×3, first 2 shown]
	s_mov_b32 s8, s15
	s_waitcnt lgkmcnt(0)
	s_bitcmp1_b32 s11, 0
	v_mov_b32_e32 v10, s4
	s_cselect_b32 s6, -1, 0
	s_delay_alu instid0(SALU_CYCLE_1)
	s_and_b32 vcc_lo, exec_lo, s6
	s_xor_b32 s6, s6, -1
	s_cbranch_vccz .LBB83_15
; %bb.1:
	v_cndmask_b32_e64 v1, 0, 1, s6
	v_mov_b32_e32 v11, s5
	s_and_not1_b32 vcc_lo, exec_lo, s6
	s_cbranch_vccz .LBB83_16
.LBB83_2:
	s_delay_alu instid0(VALU_DEP_2)
	v_cmp_ne_u32_e32 vcc_lo, 1, v1
	v_mov_b32_e32 v8, s2
	s_cbranch_vccz .LBB83_17
.LBB83_3:
	v_cmp_ne_u32_e32 vcc_lo, 1, v1
	v_mov_b32_e32 v9, s3
	s_cbranch_vccnz .LBB83_5
.LBB83_4:
	v_dual_mov_b32 v1, s2 :: v_dual_mov_b32 v2, s3
	flat_load_b32 v9, v[1:2] offset:4
.LBB83_5:
	s_waitcnt vmcnt(0) lgkmcnt(0)
	v_cmp_eq_f32_e32 vcc_lo, 0, v10
	v_cmp_eq_f32_e64 s2, 0, v11
	s_delay_alu instid0(VALU_DEP_1)
	s_and_b32 s4, vcc_lo, s2
	s_mov_b32 s2, -1
	s_and_saveexec_b32 s3, s4
; %bb.6:
	v_cmp_neq_f32_e32 vcc_lo, 1.0, v8
	v_cmp_neq_f32_e64 s2, 0, v9
	s_delay_alu instid0(VALU_DEP_1) | instskip(NEXT) | instid1(SALU_CYCLE_1)
	s_or_b32 s2, vcc_lo, s2
	s_or_not1_b32 s2, s2, exec_lo
; %bb.7:
	s_or_b32 exec_lo, exec_lo, s3
	s_and_saveexec_b32 s3, s2
	s_cbranch_execz .LBB83_43
; %bb.8:
	v_mul_u32_u24_e32 v1, 0x2aab, v0
	s_clause 0x1
	s_load_b32 s4, s[0:1], 0x4
	s_load_b64 s[2:3], s[0:1], 0x10
	s_delay_alu instid0(VALU_DEP_1) | instskip(NEXT) | instid1(VALU_DEP_1)
	v_lshrrev_b32_e32 v1, 16, v1
	v_mul_lo_u16 v1, v1, 6
	s_delay_alu instid0(VALU_DEP_1) | instskip(NEXT) | instid1(VALU_DEP_1)
	v_sub_nc_u16 v1, v0, v1
	v_and_b32_e32 v12, 0xffff, v1
	s_waitcnt lgkmcnt(0)
	s_cmp_lg_u32 s4, 1
	v_and_b32_e32 v4, 0xffff, v0
	s_cselect_b32 s11, -1, 0
	v_mov_b32_e32 v3, v12
	s_and_b32 vcc_lo, exec_lo, s11
	s_cbranch_vccnz .LBB83_10
; %bb.9:
	v_mul_u32_u24_e32 v1, 0x124a, v4
	s_delay_alu instid0(VALU_DEP_1) | instskip(NEXT) | instid1(VALU_DEP_1)
	v_lshrrev_b32_e32 v1, 16, v1
	v_mul_lo_u16 v2, v1, 43
	s_delay_alu instid0(VALU_DEP_1) | instskip(NEXT) | instid1(VALU_DEP_1)
	v_lshrrev_b16 v2, 8, v2
	v_mul_lo_u16 v2, v2, 6
	s_delay_alu instid0(VALU_DEP_1) | instskip(NEXT) | instid1(VALU_DEP_1)
	v_sub_nc_u16 v1, v1, v2
	v_and_b32_e32 v3, 0xff, v1
.LBB83_10:
	s_ashr_i32 s9, s8, 31
	v_dual_mov_b32 v2, 0 :: v_dual_mov_b32 v1, 0
	s_lshl_b64 s[4:5], s[8:9], 2
	s_delay_alu instid0(SALU_CYCLE_1)
	s_add_u32 s2, s2, s4
	s_addc_u32 s3, s3, s5
	s_load_b64 s[12:13], s[2:3], 0x0
	s_load_b64 s[2:3], s[0:1], 0x40
	s_waitcnt lgkmcnt(0)
	s_cmp_ge_i32 s12, s13
	s_cbranch_scc1 .LBB83_18
; %bb.11:
	s_clause 0x1
	s_load_b128 s[4:7], s[0:1], 0x18
	s_load_b64 s[0:1], s[0:1], 0x30
	v_mad_u64_u32 v[1:2], null, 0x54, s12, v[0:1]
	v_mul_u32_u24_e32 v4, 0x30d, v4
	v_dual_mov_b32 v2, 0 :: v_dual_mov_b32 v5, 0
	s_mul_i32 s9, s10, 0x54
	s_sub_i32 s12, s12, s10
	s_delay_alu instid0(VALU_DEP_2) | instskip(NEXT) | instid1(VALU_DEP_4)
	v_lshrrev_b32_e32 v13, 16, v4
	v_subrev_nc_u32_e32 v4, s9, v1
	v_mov_b32_e32 v1, v2
	s_sub_i32 s9, s13, s10
	s_set_inst_prefetch_distance 0x1
	s_branch .LBB83_13
	.p2align	6
.LBB83_12:                              ;   in Loop: Header=BB83_13 Depth=1
	s_or_b32 exec_lo, exec_lo, s13
	v_add_nc_u32_e32 v4, 0x54, v4
	s_add_i32 s12, s12, 1
	s_delay_alu instid0(SALU_CYCLE_1)
	s_cmp_ge_i32 s12, s9
	s_cbranch_scc1 .LBB83_18
.LBB83_13:                              ; =>This Inner Loop Header: Depth=1
	v_add_nc_u32_e32 v6, s12, v13
	s_mov_b32 s13, exec_lo
	s_delay_alu instid0(VALU_DEP_1)
	v_cmpx_gt_i32_e64 s9, v6
	s_cbranch_execz .LBB83_12
; %bb.14:                               ;   in Loop: Header=BB83_13 Depth=1
	v_ashrrev_i32_e32 v7, 31, v6
	s_delay_alu instid0(VALU_DEP_1) | instskip(SKIP_1) | instid1(VALU_DEP_1)
	v_lshlrev_b64 v[6:7], 2, v[6:7]
	s_waitcnt lgkmcnt(0)
	v_add_co_u32 v6, vcc_lo, s4, v6
	s_delay_alu instid0(VALU_DEP_2) | instskip(SKIP_3) | instid1(VALU_DEP_1)
	v_add_co_ci_u32_e32 v7, vcc_lo, s5, v7, vcc_lo
	global_load_b32 v6, v[6:7], off
	s_waitcnt vmcnt(0)
	v_subrev_nc_u32_e32 v14, s10, v6
	v_mad_u64_u32 v[6:7], null, v14, 6, v[3:4]
	v_lshlrev_b64 v[14:15], 3, v[4:5]
	s_delay_alu instid0(VALU_DEP_1) | instskip(NEXT) | instid1(VALU_DEP_3)
	v_add_co_u32 v14, vcc_lo, s6, v14
	v_ashrrev_i32_e32 v7, 31, v6
	s_delay_alu instid0(VALU_DEP_3) | instskip(NEXT) | instid1(VALU_DEP_2)
	v_add_co_ci_u32_e32 v15, vcc_lo, s7, v15, vcc_lo
	v_lshlrev_b64 v[6:7], 3, v[6:7]
	s_delay_alu instid0(VALU_DEP_1) | instskip(NEXT) | instid1(VALU_DEP_2)
	v_add_co_u32 v6, vcc_lo, s0, v6
	v_add_co_ci_u32_e32 v7, vcc_lo, s1, v7, vcc_lo
	global_load_b64 v[14:15], v[14:15], off
	global_load_b64 v[6:7], v[6:7], off
	s_waitcnt vmcnt(0)
	v_fmac_f32_e32 v1, v14, v6
	v_fmac_f32_e32 v2, v15, v6
	s_delay_alu instid0(VALU_DEP_2) | instskip(NEXT) | instid1(VALU_DEP_2)
	v_fma_f32 v1, -v15, v7, v1
	v_fmac_f32_e32 v2, v14, v7
	s_branch .LBB83_12
.LBB83_15:
	v_dual_mov_b32 v1, s4 :: v_dual_mov_b32 v2, s5
	flat_load_b32 v10, v[1:2]
	v_cndmask_b32_e64 v1, 0, 1, s6
	v_mov_b32_e32 v11, s5
	s_and_not1_b32 vcc_lo, exec_lo, s6
	s_cbranch_vccnz .LBB83_2
.LBB83_16:
	v_dual_mov_b32 v2, s4 :: v_dual_mov_b32 v3, s5
	flat_load_b32 v11, v[2:3] offset:4
	v_cmp_ne_u32_e32 vcc_lo, 1, v1
	v_mov_b32_e32 v8, s2
	s_cbranch_vccnz .LBB83_3
.LBB83_17:
	v_dual_mov_b32 v2, s2 :: v_dual_mov_b32 v3, s3
	flat_load_b32 v8, v[2:3]
	v_cmp_ne_u32_e32 vcc_lo, 1, v1
	v_mov_b32_e32 v9, s3
	s_cbranch_vccz .LBB83_4
	s_branch .LBB83_5
.LBB83_18:
	s_set_inst_prefetch_distance 0x2
	v_lshlrev_b32_e32 v5, 3, v0
	s_and_b32 vcc_lo, exec_lo, s11
	ds_store_b64 v5, v[1:2]
	s_waitcnt lgkmcnt(0)
	s_barrier
	buffer_gl0_inv
	s_cbranch_vccz .LBB83_28
; %bb.19:
	v_cmp_gt_u16_e32 vcc_lo, 2, v12
	s_and_saveexec_b32 s0, vcc_lo
	s_cbranch_execz .LBB83_21
; %bb.20:
	ds_load_2addr_b64 v[13:16], v5 offset1:4
	s_waitcnt lgkmcnt(0)
	v_dual_add_f32 v3, v15, v13 :: v_dual_add_f32 v4, v16, v14
	ds_store_b64 v5, v[3:4]
.LBB83_21:
	s_or_b32 exec_lo, exec_lo, s0
	s_waitcnt lgkmcnt(0)
	s_barrier
	buffer_gl0_inv
	s_and_saveexec_b32 s0, vcc_lo
	s_cbranch_execz .LBB83_23
; %bb.22:
	ds_load_2addr_b64 v[13:16], v5 offset1:2
	s_waitcnt lgkmcnt(0)
	v_dual_add_f32 v3, v15, v13 :: v_dual_add_f32 v4, v16, v14
	ds_store_b64 v5, v[3:4]
.LBB83_23:
	s_or_b32 exec_lo, exec_lo, s0
	s_delay_alu instid0(SALU_CYCLE_1)
	s_mov_b32 s0, exec_lo
	s_waitcnt lgkmcnt(0)
	s_barrier
	buffer_gl0_inv
	v_cmpx_eq_u16_e32 0, v12
	s_cbranch_execz .LBB83_25
; %bb.24:
	ds_load_2addr_b64 v[12:15], v5 offset1:1
	s_waitcnt lgkmcnt(0)
	v_dual_add_f32 v3, v14, v12 :: v_dual_add_f32 v4, v15, v13
	ds_store_b64 v5, v[3:4]
.LBB83_25:
	s_or_b32 exec_lo, exec_lo, s0
	v_dual_mov_b32 v4, v2 :: v_dual_mov_b32 v3, v1
	s_mov_b32 s0, exec_lo
	s_waitcnt lgkmcnt(0)
	s_barrier
	buffer_gl0_inv
	v_cmpx_gt_u32_e32 14, v0
	s_cbranch_execz .LBB83_27
; %bb.26:
	v_mad_u32_u24 v3, v0, 40, v5
	ds_load_b64 v[3:4], v3
.LBB83_27:
	s_or_b32 exec_lo, exec_lo, s0
	s_branch .LBB83_38
.LBB83_28:
                                        ; implicit-def: $vgpr4
	s_cbranch_execz .LBB83_38
; %bb.29:
	v_cmp_gt_u32_e32 vcc_lo, 28, v0
	s_and_saveexec_b32 s0, vcc_lo
	s_cbranch_execz .LBB83_31
; %bb.30:
	ds_load_2addr_b64 v[12:15], v5 offset1:56
	s_waitcnt lgkmcnt(0)
	v_dual_add_f32 v3, v14, v12 :: v_dual_add_f32 v4, v15, v13
	ds_store_b64 v5, v[3:4]
.LBB83_31:
	s_or_b32 exec_lo, exec_lo, s0
	s_waitcnt lgkmcnt(0)
	s_barrier
	buffer_gl0_inv
	s_and_saveexec_b32 s0, vcc_lo
	s_cbranch_execz .LBB83_33
; %bb.32:
	ds_load_2addr_b64 v[12:15], v5 offset1:28
	s_waitcnt lgkmcnt(0)
	v_dual_add_f32 v3, v14, v12 :: v_dual_add_f32 v4, v15, v13
	ds_store_b64 v5, v[3:4]
.LBB83_33:
	s_or_b32 exec_lo, exec_lo, s0
	s_delay_alu instid0(SALU_CYCLE_1)
	s_mov_b32 s0, exec_lo
	s_waitcnt lgkmcnt(0)
	buffer_gl0_inv
	v_cmpx_lt_u32_e32 13, v0
	s_xor_b32 s0, exec_lo, s0
	s_cbranch_execz .LBB83_35
; %bb.34:
	buffer_gl0_inv
                                        ; implicit-def: $vgpr5
.LBB83_35:
	s_and_not1_saveexec_b32 s0, s0
	s_cbranch_execz .LBB83_37
; %bb.36:
	ds_load_2addr_b64 v[1:4], v5 offset1:14
	s_waitcnt lgkmcnt(0)
	v_dual_add_f32 v1, v3, v1 :: v_dual_add_f32 v2, v4, v2
	ds_store_b64 v5, v[1:2]
	s_waitcnt lgkmcnt(0)
	buffer_gl0_inv
	ds_load_b64 v[1:2], v5
.LBB83_37:
	s_or_b32 exec_lo, exec_lo, s0
	s_waitcnt lgkmcnt(0)
	v_dual_mov_b32 v4, v2 :: v_dual_mov_b32 v3, v1
.LBB83_38:
	v_cmp_gt_u32_e32 vcc_lo, 14, v0
	s_and_b32 exec_lo, exec_lo, vcc_lo
	s_cbranch_execz .LBB83_43
; %bb.39:
	s_waitcnt lgkmcnt(0)
	v_mul_f32_e64 v1, v4, -v11
	v_mul_f32_e32 v2, v4, v10
	v_cmp_eq_f32_e32 vcc_lo, 0, v8
	v_cmp_eq_f32_e64 s0, 0, v9
	s_delay_alu instid0(VALU_DEP_4) | instskip(NEXT) | instid1(VALU_DEP_4)
	v_fmac_f32_e32 v1, v10, v3
	v_fmac_f32_e32 v2, v11, v3
	s_delay_alu instid0(VALU_DEP_3) | instskip(NEXT) | instid1(SALU_CYCLE_1)
	s_and_b32 s0, vcc_lo, s0
	s_and_saveexec_b32 s1, s0
	s_delay_alu instid0(SALU_CYCLE_1)
	s_xor_b32 s0, exec_lo, s1
	s_cbranch_execz .LBB83_41
; %bb.40:
	v_mad_u64_u32 v[3:4], null, s8, 14, v[0:1]
	v_mov_b32_e32 v4, 0
                                        ; implicit-def: $vgpr0
                                        ; implicit-def: $vgpr8
                                        ; implicit-def: $vgpr9
	s_delay_alu instid0(VALU_DEP_1) | instskip(NEXT) | instid1(VALU_DEP_1)
	v_lshlrev_b64 v[3:4], 3, v[3:4]
	v_add_co_u32 v3, vcc_lo, s2, v3
	s_delay_alu instid0(VALU_DEP_2)
	v_add_co_ci_u32_e32 v4, vcc_lo, s3, v4, vcc_lo
	global_store_b64 v[3:4], v[1:2], off
                                        ; implicit-def: $vgpr1
.LBB83_41:
	s_and_not1_saveexec_b32 s0, s0
	s_cbranch_execz .LBB83_43
; %bb.42:
	v_mad_u64_u32 v[3:4], null, s8, 14, v[0:1]
	v_mov_b32_e32 v4, 0
	s_delay_alu instid0(VALU_DEP_1) | instskip(NEXT) | instid1(VALU_DEP_1)
	v_lshlrev_b64 v[3:4], 3, v[3:4]
	v_add_co_u32 v3, vcc_lo, s2, v3
	s_delay_alu instid0(VALU_DEP_2) | instskip(SKIP_4) | instid1(VALU_DEP_2)
	v_add_co_ci_u32_e32 v4, vcc_lo, s3, v4, vcc_lo
	global_load_b64 v[5:6], v[3:4], off
	s_waitcnt vmcnt(0)
	v_fmac_f32_e32 v1, v8, v5
	v_fmac_f32_e32 v2, v9, v5
	v_fma_f32 v1, -v9, v6, v1
	s_delay_alu instid0(VALU_DEP_2)
	v_fmac_f32_e32 v2, v8, v6
	global_store_b64 v[3:4], v[1:2], off
.LBB83_43:
	s_nop 0
	s_sendmsg sendmsg(MSG_DEALLOC_VGPRS)
	s_endpgm
	.section	.rodata,"a",@progbits
	.p2align	6, 0x0
	.amdhsa_kernel _ZN9rocsparseL22gebsrmvn_mxn_16_kernelILj84ELj14ELj6E21rocsparse_complex_numIfEEEvi20rocsparse_direction_NS_24const_host_device_scalarIT2_EEPKiS8_PKS5_iiSA_S6_PS5_21rocsparse_index_base_b
		.amdhsa_group_segment_fixed_size 672
		.amdhsa_private_segment_fixed_size 0
		.amdhsa_kernarg_size 80
		.amdhsa_user_sgpr_count 15
		.amdhsa_user_sgpr_dispatch_ptr 0
		.amdhsa_user_sgpr_queue_ptr 0
		.amdhsa_user_sgpr_kernarg_segment_ptr 1
		.amdhsa_user_sgpr_dispatch_id 0
		.amdhsa_user_sgpr_private_segment_size 0
		.amdhsa_wavefront_size32 1
		.amdhsa_uses_dynamic_stack 0
		.amdhsa_enable_private_segment 0
		.amdhsa_system_sgpr_workgroup_id_x 1
		.amdhsa_system_sgpr_workgroup_id_y 0
		.amdhsa_system_sgpr_workgroup_id_z 0
		.amdhsa_system_sgpr_workgroup_info 0
		.amdhsa_system_vgpr_workitem_id 0
		.amdhsa_next_free_vgpr 17
		.amdhsa_next_free_sgpr 16
		.amdhsa_reserve_vcc 1
		.amdhsa_float_round_mode_32 0
		.amdhsa_float_round_mode_16_64 0
		.amdhsa_float_denorm_mode_32 3
		.amdhsa_float_denorm_mode_16_64 3
		.amdhsa_dx10_clamp 1
		.amdhsa_ieee_mode 1
		.amdhsa_fp16_overflow 0
		.amdhsa_workgroup_processor_mode 1
		.amdhsa_memory_ordered 1
		.amdhsa_forward_progress 0
		.amdhsa_shared_vgpr_count 0
		.amdhsa_exception_fp_ieee_invalid_op 0
		.amdhsa_exception_fp_denorm_src 0
		.amdhsa_exception_fp_ieee_div_zero 0
		.amdhsa_exception_fp_ieee_overflow 0
		.amdhsa_exception_fp_ieee_underflow 0
		.amdhsa_exception_fp_ieee_inexact 0
		.amdhsa_exception_int_div_zero 0
	.end_amdhsa_kernel
	.section	.text._ZN9rocsparseL22gebsrmvn_mxn_16_kernelILj84ELj14ELj6E21rocsparse_complex_numIfEEEvi20rocsparse_direction_NS_24const_host_device_scalarIT2_EEPKiS8_PKS5_iiSA_S6_PS5_21rocsparse_index_base_b,"axG",@progbits,_ZN9rocsparseL22gebsrmvn_mxn_16_kernelILj84ELj14ELj6E21rocsparse_complex_numIfEEEvi20rocsparse_direction_NS_24const_host_device_scalarIT2_EEPKiS8_PKS5_iiSA_S6_PS5_21rocsparse_index_base_b,comdat
.Lfunc_end83:
	.size	_ZN9rocsparseL22gebsrmvn_mxn_16_kernelILj84ELj14ELj6E21rocsparse_complex_numIfEEEvi20rocsparse_direction_NS_24const_host_device_scalarIT2_EEPKiS8_PKS5_iiSA_S6_PS5_21rocsparse_index_base_b, .Lfunc_end83-_ZN9rocsparseL22gebsrmvn_mxn_16_kernelILj84ELj14ELj6E21rocsparse_complex_numIfEEEvi20rocsparse_direction_NS_24const_host_device_scalarIT2_EEPKiS8_PKS5_iiSA_S6_PS5_21rocsparse_index_base_b
                                        ; -- End function
	.section	.AMDGPU.csdata,"",@progbits
; Kernel info:
; codeLenInByte = 1520
; NumSgprs: 18
; NumVgprs: 17
; ScratchSize: 0
; MemoryBound: 0
; FloatMode: 240
; IeeeMode: 1
; LDSByteSize: 672 bytes/workgroup (compile time only)
; SGPRBlocks: 2
; VGPRBlocks: 2
; NumSGPRsForWavesPerEU: 18
; NumVGPRsForWavesPerEU: 17
; Occupancy: 16
; WaveLimiterHint : 1
; COMPUTE_PGM_RSRC2:SCRATCH_EN: 0
; COMPUTE_PGM_RSRC2:USER_SGPR: 15
; COMPUTE_PGM_RSRC2:TRAP_HANDLER: 0
; COMPUTE_PGM_RSRC2:TGID_X_EN: 1
; COMPUTE_PGM_RSRC2:TGID_Y_EN: 0
; COMPUTE_PGM_RSRC2:TGID_Z_EN: 0
; COMPUTE_PGM_RSRC2:TIDIG_COMP_CNT: 0
	.section	.text._ZN9rocsparseL22gebsrmvn_mxn_16_kernelILj98ELj14ELj7E21rocsparse_complex_numIfEEEvi20rocsparse_direction_NS_24const_host_device_scalarIT2_EEPKiS8_PKS5_iiSA_S6_PS5_21rocsparse_index_base_b,"axG",@progbits,_ZN9rocsparseL22gebsrmvn_mxn_16_kernelILj98ELj14ELj7E21rocsparse_complex_numIfEEEvi20rocsparse_direction_NS_24const_host_device_scalarIT2_EEPKiS8_PKS5_iiSA_S6_PS5_21rocsparse_index_base_b,comdat
	.globl	_ZN9rocsparseL22gebsrmvn_mxn_16_kernelILj98ELj14ELj7E21rocsparse_complex_numIfEEEvi20rocsparse_direction_NS_24const_host_device_scalarIT2_EEPKiS8_PKS5_iiSA_S6_PS5_21rocsparse_index_base_b ; -- Begin function _ZN9rocsparseL22gebsrmvn_mxn_16_kernelILj98ELj14ELj7E21rocsparse_complex_numIfEEEvi20rocsparse_direction_NS_24const_host_device_scalarIT2_EEPKiS8_PKS5_iiSA_S6_PS5_21rocsparse_index_base_b
	.p2align	8
	.type	_ZN9rocsparseL22gebsrmvn_mxn_16_kernelILj98ELj14ELj7E21rocsparse_complex_numIfEEEvi20rocsparse_direction_NS_24const_host_device_scalarIT2_EEPKiS8_PKS5_iiSA_S6_PS5_21rocsparse_index_base_b,@function
_ZN9rocsparseL22gebsrmvn_mxn_16_kernelILj98ELj14ELj7E21rocsparse_complex_numIfEEEvi20rocsparse_direction_NS_24const_host_device_scalarIT2_EEPKiS8_PKS5_iiSA_S6_PS5_21rocsparse_index_base_b: ; @_ZN9rocsparseL22gebsrmvn_mxn_16_kernelILj98ELj14ELj7E21rocsparse_complex_numIfEEEvi20rocsparse_direction_NS_24const_host_device_scalarIT2_EEPKiS8_PKS5_iiSA_S6_PS5_21rocsparse_index_base_b
; %bb.0:
	s_clause 0x2
	s_load_b64 s[10:11], s[0:1], 0x48
	s_load_b64 s[4:5], s[0:1], 0x8
	;; [unrolled: 1-line block ×3, first 2 shown]
	s_mov_b32 s8, s15
	s_waitcnt lgkmcnt(0)
	s_bitcmp1_b32 s11, 0
	v_mov_b32_e32 v10, s4
	s_cselect_b32 s6, -1, 0
	s_delay_alu instid0(SALU_CYCLE_1)
	s_and_b32 vcc_lo, exec_lo, s6
	s_xor_b32 s6, s6, -1
	s_cbranch_vccz .LBB84_15
; %bb.1:
	v_cndmask_b32_e64 v1, 0, 1, s6
	v_mov_b32_e32 v11, s5
	s_and_not1_b32 vcc_lo, exec_lo, s6
	s_cbranch_vccz .LBB84_16
.LBB84_2:
	s_delay_alu instid0(VALU_DEP_2)
	v_cmp_ne_u32_e32 vcc_lo, 1, v1
	v_mov_b32_e32 v8, s2
	s_cbranch_vccz .LBB84_17
.LBB84_3:
	v_cmp_ne_u32_e32 vcc_lo, 1, v1
	v_mov_b32_e32 v9, s3
	s_cbranch_vccnz .LBB84_5
.LBB84_4:
	v_dual_mov_b32 v1, s2 :: v_dual_mov_b32 v2, s3
	flat_load_b32 v9, v[1:2] offset:4
.LBB84_5:
	s_waitcnt vmcnt(0) lgkmcnt(0)
	v_cmp_eq_f32_e32 vcc_lo, 0, v10
	v_cmp_eq_f32_e64 s2, 0, v11
	s_delay_alu instid0(VALU_DEP_1)
	s_and_b32 s4, vcc_lo, s2
	s_mov_b32 s2, -1
	s_and_saveexec_b32 s3, s4
; %bb.6:
	v_cmp_neq_f32_e32 vcc_lo, 1.0, v8
	v_cmp_neq_f32_e64 s2, 0, v9
	s_delay_alu instid0(VALU_DEP_1) | instskip(NEXT) | instid1(SALU_CYCLE_1)
	s_or_b32 s2, vcc_lo, s2
	s_or_not1_b32 s2, s2, exec_lo
; %bb.7:
	s_or_b32 exec_lo, exec_lo, s3
	s_and_saveexec_b32 s3, s2
	s_cbranch_execz .LBB84_43
; %bb.8:
	v_mul_u32_u24_e32 v1, 0x2493, v0
	s_clause 0x1
	s_load_b32 s4, s[0:1], 0x4
	s_load_b64 s[2:3], s[0:1], 0x10
	s_delay_alu instid0(VALU_DEP_1) | instskip(NEXT) | instid1(VALU_DEP_1)
	v_lshrrev_b32_e32 v1, 16, v1
	v_mul_lo_u16 v1, v1, 7
	s_delay_alu instid0(VALU_DEP_1) | instskip(NEXT) | instid1(VALU_DEP_1)
	v_sub_nc_u16 v1, v0, v1
	v_and_b32_e32 v12, 0xffff, v1
	s_waitcnt lgkmcnt(0)
	s_cmp_lg_u32 s4, 1
	v_and_b32_e32 v4, 0xffff, v0
	s_cselect_b32 s11, -1, 0
	v_mov_b32_e32 v3, v12
	s_and_b32 vcc_lo, exec_lo, s11
	s_cbranch_vccnz .LBB84_10
; %bb.9:
	v_mul_u32_u24_e32 v1, 0x124a, v4
	s_delay_alu instid0(VALU_DEP_1) | instskip(NEXT) | instid1(VALU_DEP_1)
	v_lshrrev_b32_e32 v1, 16, v1
	v_mul_lo_u16 v2, v1, 37
	s_delay_alu instid0(VALU_DEP_1) | instskip(NEXT) | instid1(VALU_DEP_1)
	v_lshrrev_b16 v2, 8, v2
	v_mul_lo_u16 v2, v2, 7
	s_delay_alu instid0(VALU_DEP_1) | instskip(NEXT) | instid1(VALU_DEP_1)
	v_sub_nc_u16 v1, v1, v2
	v_and_b32_e32 v3, 0xff, v1
.LBB84_10:
	s_ashr_i32 s9, s8, 31
	v_dual_mov_b32 v2, 0 :: v_dual_mov_b32 v1, 0
	s_lshl_b64 s[4:5], s[8:9], 2
	s_delay_alu instid0(SALU_CYCLE_1)
	s_add_u32 s2, s2, s4
	s_addc_u32 s3, s3, s5
	s_load_b64 s[12:13], s[2:3], 0x0
	s_load_b64 s[2:3], s[0:1], 0x40
	s_waitcnt lgkmcnt(0)
	s_cmp_ge_i32 s12, s13
	s_cbranch_scc1 .LBB84_18
; %bb.11:
	s_clause 0x1
	s_load_b128 s[4:7], s[0:1], 0x18
	s_load_b64 s[0:1], s[0:1], 0x30
	v_mad_u64_u32 v[1:2], null, 0x62, s12, v[0:1]
	v_mul_u32_u24_e32 v4, 0x29d, v4
	v_dual_mov_b32 v2, 0 :: v_dual_mov_b32 v5, 0
	s_mul_i32 s9, s10, 0x62
	s_sub_i32 s12, s12, s10
	s_delay_alu instid0(VALU_DEP_2) | instskip(NEXT) | instid1(VALU_DEP_4)
	v_lshrrev_b32_e32 v13, 16, v4
	v_subrev_nc_u32_e32 v4, s9, v1
	v_mov_b32_e32 v1, v2
	s_sub_i32 s9, s13, s10
	s_set_inst_prefetch_distance 0x1
	s_branch .LBB84_13
	.p2align	6
.LBB84_12:                              ;   in Loop: Header=BB84_13 Depth=1
	s_or_b32 exec_lo, exec_lo, s13
	v_add_nc_u32_e32 v4, 0x62, v4
	s_add_i32 s12, s12, 1
	s_delay_alu instid0(SALU_CYCLE_1)
	s_cmp_ge_i32 s12, s9
	s_cbranch_scc1 .LBB84_18
.LBB84_13:                              ; =>This Inner Loop Header: Depth=1
	v_add_nc_u32_e32 v6, s12, v13
	s_mov_b32 s13, exec_lo
	s_delay_alu instid0(VALU_DEP_1)
	v_cmpx_gt_i32_e64 s9, v6
	s_cbranch_execz .LBB84_12
; %bb.14:                               ;   in Loop: Header=BB84_13 Depth=1
	v_ashrrev_i32_e32 v7, 31, v6
	s_delay_alu instid0(VALU_DEP_1) | instskip(SKIP_1) | instid1(VALU_DEP_1)
	v_lshlrev_b64 v[6:7], 2, v[6:7]
	s_waitcnt lgkmcnt(0)
	v_add_co_u32 v6, vcc_lo, s4, v6
	s_delay_alu instid0(VALU_DEP_2) | instskip(SKIP_3) | instid1(VALU_DEP_1)
	v_add_co_ci_u32_e32 v7, vcc_lo, s5, v7, vcc_lo
	global_load_b32 v6, v[6:7], off
	s_waitcnt vmcnt(0)
	v_subrev_nc_u32_e32 v14, s10, v6
	v_mad_u64_u32 v[6:7], null, v14, 7, v[3:4]
	v_lshlrev_b64 v[14:15], 3, v[4:5]
	s_delay_alu instid0(VALU_DEP_1) | instskip(NEXT) | instid1(VALU_DEP_3)
	v_add_co_u32 v14, vcc_lo, s6, v14
	v_ashrrev_i32_e32 v7, 31, v6
	s_delay_alu instid0(VALU_DEP_3) | instskip(NEXT) | instid1(VALU_DEP_2)
	v_add_co_ci_u32_e32 v15, vcc_lo, s7, v15, vcc_lo
	v_lshlrev_b64 v[6:7], 3, v[6:7]
	s_delay_alu instid0(VALU_DEP_1) | instskip(NEXT) | instid1(VALU_DEP_2)
	v_add_co_u32 v6, vcc_lo, s0, v6
	v_add_co_ci_u32_e32 v7, vcc_lo, s1, v7, vcc_lo
	global_load_b64 v[14:15], v[14:15], off
	global_load_b64 v[6:7], v[6:7], off
	s_waitcnt vmcnt(0)
	v_fmac_f32_e32 v1, v14, v6
	v_fmac_f32_e32 v2, v15, v6
	s_delay_alu instid0(VALU_DEP_2) | instskip(NEXT) | instid1(VALU_DEP_2)
	v_fma_f32 v1, -v15, v7, v1
	v_fmac_f32_e32 v2, v14, v7
	s_branch .LBB84_12
.LBB84_15:
	v_dual_mov_b32 v1, s4 :: v_dual_mov_b32 v2, s5
	flat_load_b32 v10, v[1:2]
	v_cndmask_b32_e64 v1, 0, 1, s6
	v_mov_b32_e32 v11, s5
	s_and_not1_b32 vcc_lo, exec_lo, s6
	s_cbranch_vccnz .LBB84_2
.LBB84_16:
	v_dual_mov_b32 v2, s4 :: v_dual_mov_b32 v3, s5
	flat_load_b32 v11, v[2:3] offset:4
	v_cmp_ne_u32_e32 vcc_lo, 1, v1
	v_mov_b32_e32 v8, s2
	s_cbranch_vccnz .LBB84_3
.LBB84_17:
	v_dual_mov_b32 v2, s2 :: v_dual_mov_b32 v3, s3
	flat_load_b32 v8, v[2:3]
	v_cmp_ne_u32_e32 vcc_lo, 1, v1
	v_mov_b32_e32 v9, s3
	s_cbranch_vccz .LBB84_4
	s_branch .LBB84_5
.LBB84_18:
	s_set_inst_prefetch_distance 0x2
	v_lshlrev_b32_e32 v5, 3, v0
	s_and_b32 vcc_lo, exec_lo, s11
	ds_store_b64 v5, v[1:2]
	s_waitcnt lgkmcnt(0)
	s_barrier
	buffer_gl0_inv
	s_cbranch_vccz .LBB84_28
; %bb.19:
	s_mov_b32 s0, exec_lo
	v_cmpx_gt_u16_e32 3, v12
	s_cbranch_execz .LBB84_21
; %bb.20:
	ds_load_2addr_b64 v[13:16], v5 offset1:4
	s_waitcnt lgkmcnt(0)
	v_dual_add_f32 v3, v15, v13 :: v_dual_add_f32 v4, v16, v14
	ds_store_b64 v5, v[3:4]
.LBB84_21:
	s_or_b32 exec_lo, exec_lo, s0
	s_delay_alu instid0(SALU_CYCLE_1)
	s_mov_b32 s0, exec_lo
	s_waitcnt lgkmcnt(0)
	s_barrier
	buffer_gl0_inv
	v_cmpx_gt_u16_e32 2, v12
	s_cbranch_execz .LBB84_23
; %bb.22:
	ds_load_2addr_b64 v[13:16], v5 offset1:2
	s_waitcnt lgkmcnt(0)
	v_dual_add_f32 v3, v15, v13 :: v_dual_add_f32 v4, v16, v14
	ds_store_b64 v5, v[3:4]
.LBB84_23:
	s_or_b32 exec_lo, exec_lo, s0
	s_delay_alu instid0(SALU_CYCLE_1)
	s_mov_b32 s0, exec_lo
	s_waitcnt lgkmcnt(0)
	s_barrier
	buffer_gl0_inv
	v_cmpx_eq_u16_e32 0, v12
	s_cbranch_execz .LBB84_25
; %bb.24:
	ds_load_2addr_b64 v[12:15], v5 offset1:1
	s_waitcnt lgkmcnt(0)
	v_dual_add_f32 v3, v14, v12 :: v_dual_add_f32 v4, v15, v13
	ds_store_b64 v5, v[3:4]
.LBB84_25:
	s_or_b32 exec_lo, exec_lo, s0
	v_dual_mov_b32 v4, v2 :: v_dual_mov_b32 v3, v1
	s_mov_b32 s0, exec_lo
	s_waitcnt lgkmcnt(0)
	s_barrier
	buffer_gl0_inv
	v_cmpx_gt_u32_e32 14, v0
	s_cbranch_execz .LBB84_27
; %bb.26:
	v_mad_u32_u24 v3, v0, 48, v5
	ds_load_b64 v[3:4], v3
.LBB84_27:
	s_or_b32 exec_lo, exec_lo, s0
	s_branch .LBB84_38
.LBB84_28:
                                        ; implicit-def: $vgpr4
	s_cbranch_execz .LBB84_38
; %bb.29:
	s_mov_b32 s0, exec_lo
	v_cmpx_gt_u32_e32 42, v0
	s_cbranch_execz .LBB84_31
; %bb.30:
	ds_load_2addr_b64 v[12:15], v5 offset1:56
	s_waitcnt lgkmcnt(0)
	v_dual_add_f32 v3, v14, v12 :: v_dual_add_f32 v4, v15, v13
	ds_store_b64 v5, v[3:4]
.LBB84_31:
	s_or_b32 exec_lo, exec_lo, s0
	s_delay_alu instid0(SALU_CYCLE_1)
	s_mov_b32 s0, exec_lo
	s_waitcnt lgkmcnt(0)
	s_barrier
	buffer_gl0_inv
	v_cmpx_gt_u32_e32 28, v0
	s_cbranch_execz .LBB84_33
; %bb.32:
	ds_load_2addr_b64 v[12:15], v5 offset1:28
	s_waitcnt lgkmcnt(0)
	v_dual_add_f32 v3, v14, v12 :: v_dual_add_f32 v4, v15, v13
	ds_store_b64 v5, v[3:4]
.LBB84_33:
	s_or_b32 exec_lo, exec_lo, s0
	s_delay_alu instid0(SALU_CYCLE_1)
	s_mov_b32 s0, exec_lo
	s_waitcnt lgkmcnt(0)
	buffer_gl0_inv
	v_cmpx_lt_u32_e32 13, v0
	s_xor_b32 s0, exec_lo, s0
	s_cbranch_execz .LBB84_35
; %bb.34:
	buffer_gl0_inv
                                        ; implicit-def: $vgpr5
.LBB84_35:
	s_and_not1_saveexec_b32 s0, s0
	s_cbranch_execz .LBB84_37
; %bb.36:
	ds_load_2addr_b64 v[1:4], v5 offset1:14
	s_waitcnt lgkmcnt(0)
	v_dual_add_f32 v1, v3, v1 :: v_dual_add_f32 v2, v4, v2
	ds_store_b64 v5, v[1:2]
	s_waitcnt lgkmcnt(0)
	buffer_gl0_inv
	ds_load_b64 v[1:2], v5
.LBB84_37:
	s_or_b32 exec_lo, exec_lo, s0
	s_waitcnt lgkmcnt(0)
	v_dual_mov_b32 v4, v2 :: v_dual_mov_b32 v3, v1
.LBB84_38:
	v_cmp_gt_u32_e32 vcc_lo, 14, v0
	s_and_b32 exec_lo, exec_lo, vcc_lo
	s_cbranch_execz .LBB84_43
; %bb.39:
	s_waitcnt lgkmcnt(0)
	v_mul_f32_e64 v1, v4, -v11
	v_mul_f32_e32 v2, v4, v10
	v_cmp_eq_f32_e32 vcc_lo, 0, v8
	v_cmp_eq_f32_e64 s0, 0, v9
	s_delay_alu instid0(VALU_DEP_4) | instskip(NEXT) | instid1(VALU_DEP_4)
	v_fmac_f32_e32 v1, v10, v3
	v_fmac_f32_e32 v2, v11, v3
	s_delay_alu instid0(VALU_DEP_3) | instskip(NEXT) | instid1(SALU_CYCLE_1)
	s_and_b32 s0, vcc_lo, s0
	s_and_saveexec_b32 s1, s0
	s_delay_alu instid0(SALU_CYCLE_1)
	s_xor_b32 s0, exec_lo, s1
	s_cbranch_execz .LBB84_41
; %bb.40:
	v_mad_u64_u32 v[3:4], null, s8, 14, v[0:1]
	v_mov_b32_e32 v4, 0
                                        ; implicit-def: $vgpr0
                                        ; implicit-def: $vgpr8
                                        ; implicit-def: $vgpr9
	s_delay_alu instid0(VALU_DEP_1) | instskip(NEXT) | instid1(VALU_DEP_1)
	v_lshlrev_b64 v[3:4], 3, v[3:4]
	v_add_co_u32 v3, vcc_lo, s2, v3
	s_delay_alu instid0(VALU_DEP_2)
	v_add_co_ci_u32_e32 v4, vcc_lo, s3, v4, vcc_lo
	global_store_b64 v[3:4], v[1:2], off
                                        ; implicit-def: $vgpr1
.LBB84_41:
	s_and_not1_saveexec_b32 s0, s0
	s_cbranch_execz .LBB84_43
; %bb.42:
	v_mad_u64_u32 v[3:4], null, s8, 14, v[0:1]
	v_mov_b32_e32 v4, 0
	s_delay_alu instid0(VALU_DEP_1) | instskip(NEXT) | instid1(VALU_DEP_1)
	v_lshlrev_b64 v[3:4], 3, v[3:4]
	v_add_co_u32 v3, vcc_lo, s2, v3
	s_delay_alu instid0(VALU_DEP_2) | instskip(SKIP_4) | instid1(VALU_DEP_2)
	v_add_co_ci_u32_e32 v4, vcc_lo, s3, v4, vcc_lo
	global_load_b64 v[5:6], v[3:4], off
	s_waitcnt vmcnt(0)
	v_fmac_f32_e32 v1, v8, v5
	v_fmac_f32_e32 v2, v9, v5
	v_fma_f32 v1, -v9, v6, v1
	s_delay_alu instid0(VALU_DEP_2)
	v_fmac_f32_e32 v2, v8, v6
	global_store_b64 v[3:4], v[1:2], off
.LBB84_43:
	s_nop 0
	s_sendmsg sendmsg(MSG_DEALLOC_VGPRS)
	s_endpgm
	.section	.rodata,"a",@progbits
	.p2align	6, 0x0
	.amdhsa_kernel _ZN9rocsparseL22gebsrmvn_mxn_16_kernelILj98ELj14ELj7E21rocsparse_complex_numIfEEEvi20rocsparse_direction_NS_24const_host_device_scalarIT2_EEPKiS8_PKS5_iiSA_S6_PS5_21rocsparse_index_base_b
		.amdhsa_group_segment_fixed_size 784
		.amdhsa_private_segment_fixed_size 0
		.amdhsa_kernarg_size 80
		.amdhsa_user_sgpr_count 15
		.amdhsa_user_sgpr_dispatch_ptr 0
		.amdhsa_user_sgpr_queue_ptr 0
		.amdhsa_user_sgpr_kernarg_segment_ptr 1
		.amdhsa_user_sgpr_dispatch_id 0
		.amdhsa_user_sgpr_private_segment_size 0
		.amdhsa_wavefront_size32 1
		.amdhsa_uses_dynamic_stack 0
		.amdhsa_enable_private_segment 0
		.amdhsa_system_sgpr_workgroup_id_x 1
		.amdhsa_system_sgpr_workgroup_id_y 0
		.amdhsa_system_sgpr_workgroup_id_z 0
		.amdhsa_system_sgpr_workgroup_info 0
		.amdhsa_system_vgpr_workitem_id 0
		.amdhsa_next_free_vgpr 17
		.amdhsa_next_free_sgpr 16
		.amdhsa_reserve_vcc 1
		.amdhsa_float_round_mode_32 0
		.amdhsa_float_round_mode_16_64 0
		.amdhsa_float_denorm_mode_32 3
		.amdhsa_float_denorm_mode_16_64 3
		.amdhsa_dx10_clamp 1
		.amdhsa_ieee_mode 1
		.amdhsa_fp16_overflow 0
		.amdhsa_workgroup_processor_mode 1
		.amdhsa_memory_ordered 1
		.amdhsa_forward_progress 0
		.amdhsa_shared_vgpr_count 0
		.amdhsa_exception_fp_ieee_invalid_op 0
		.amdhsa_exception_fp_denorm_src 0
		.amdhsa_exception_fp_ieee_div_zero 0
		.amdhsa_exception_fp_ieee_overflow 0
		.amdhsa_exception_fp_ieee_underflow 0
		.amdhsa_exception_fp_ieee_inexact 0
		.amdhsa_exception_int_div_zero 0
	.end_amdhsa_kernel
	.section	.text._ZN9rocsparseL22gebsrmvn_mxn_16_kernelILj98ELj14ELj7E21rocsparse_complex_numIfEEEvi20rocsparse_direction_NS_24const_host_device_scalarIT2_EEPKiS8_PKS5_iiSA_S6_PS5_21rocsparse_index_base_b,"axG",@progbits,_ZN9rocsparseL22gebsrmvn_mxn_16_kernelILj98ELj14ELj7E21rocsparse_complex_numIfEEEvi20rocsparse_direction_NS_24const_host_device_scalarIT2_EEPKiS8_PKS5_iiSA_S6_PS5_21rocsparse_index_base_b,comdat
.Lfunc_end84:
	.size	_ZN9rocsparseL22gebsrmvn_mxn_16_kernelILj98ELj14ELj7E21rocsparse_complex_numIfEEEvi20rocsparse_direction_NS_24const_host_device_scalarIT2_EEPKiS8_PKS5_iiSA_S6_PS5_21rocsparse_index_base_b, .Lfunc_end84-_ZN9rocsparseL22gebsrmvn_mxn_16_kernelILj98ELj14ELj7E21rocsparse_complex_numIfEEEvi20rocsparse_direction_NS_24const_host_device_scalarIT2_EEPKiS8_PKS5_iiSA_S6_PS5_21rocsparse_index_base_b
                                        ; -- End function
	.section	.AMDGPU.csdata,"",@progbits
; Kernel info:
; codeLenInByte = 1536
; NumSgprs: 18
; NumVgprs: 17
; ScratchSize: 0
; MemoryBound: 0
; FloatMode: 240
; IeeeMode: 1
; LDSByteSize: 784 bytes/workgroup (compile time only)
; SGPRBlocks: 2
; VGPRBlocks: 2
; NumSGPRsForWavesPerEU: 18
; NumVGPRsForWavesPerEU: 17
; Occupancy: 16
; WaveLimiterHint : 1
; COMPUTE_PGM_RSRC2:SCRATCH_EN: 0
; COMPUTE_PGM_RSRC2:USER_SGPR: 15
; COMPUTE_PGM_RSRC2:TRAP_HANDLER: 0
; COMPUTE_PGM_RSRC2:TGID_X_EN: 1
; COMPUTE_PGM_RSRC2:TGID_Y_EN: 0
; COMPUTE_PGM_RSRC2:TGID_Z_EN: 0
; COMPUTE_PGM_RSRC2:TIDIG_COMP_CNT: 0
	.section	.text._ZN9rocsparseL22gebsrmvn_mxn_16_kernelILj112ELj14ELj8E21rocsparse_complex_numIfEEEvi20rocsparse_direction_NS_24const_host_device_scalarIT2_EEPKiS8_PKS5_iiSA_S6_PS5_21rocsparse_index_base_b,"axG",@progbits,_ZN9rocsparseL22gebsrmvn_mxn_16_kernelILj112ELj14ELj8E21rocsparse_complex_numIfEEEvi20rocsparse_direction_NS_24const_host_device_scalarIT2_EEPKiS8_PKS5_iiSA_S6_PS5_21rocsparse_index_base_b,comdat
	.globl	_ZN9rocsparseL22gebsrmvn_mxn_16_kernelILj112ELj14ELj8E21rocsparse_complex_numIfEEEvi20rocsparse_direction_NS_24const_host_device_scalarIT2_EEPKiS8_PKS5_iiSA_S6_PS5_21rocsparse_index_base_b ; -- Begin function _ZN9rocsparseL22gebsrmvn_mxn_16_kernelILj112ELj14ELj8E21rocsparse_complex_numIfEEEvi20rocsparse_direction_NS_24const_host_device_scalarIT2_EEPKiS8_PKS5_iiSA_S6_PS5_21rocsparse_index_base_b
	.p2align	8
	.type	_ZN9rocsparseL22gebsrmvn_mxn_16_kernelILj112ELj14ELj8E21rocsparse_complex_numIfEEEvi20rocsparse_direction_NS_24const_host_device_scalarIT2_EEPKiS8_PKS5_iiSA_S6_PS5_21rocsparse_index_base_b,@function
_ZN9rocsparseL22gebsrmvn_mxn_16_kernelILj112ELj14ELj8E21rocsparse_complex_numIfEEEvi20rocsparse_direction_NS_24const_host_device_scalarIT2_EEPKiS8_PKS5_iiSA_S6_PS5_21rocsparse_index_base_b: ; @_ZN9rocsparseL22gebsrmvn_mxn_16_kernelILj112ELj14ELj8E21rocsparse_complex_numIfEEEvi20rocsparse_direction_NS_24const_host_device_scalarIT2_EEPKiS8_PKS5_iiSA_S6_PS5_21rocsparse_index_base_b
; %bb.0:
	s_clause 0x2
	s_load_b64 s[10:11], s[0:1], 0x48
	s_load_b64 s[4:5], s[0:1], 0x8
	;; [unrolled: 1-line block ×3, first 2 shown]
	s_mov_b32 s8, s15
	s_waitcnt lgkmcnt(0)
	s_bitcmp1_b32 s11, 0
	v_mov_b32_e32 v9, s4
	s_cselect_b32 s6, -1, 0
	s_delay_alu instid0(SALU_CYCLE_1)
	s_and_b32 vcc_lo, exec_lo, s6
	s_xor_b32 s6, s6, -1
	s_cbranch_vccz .LBB85_15
; %bb.1:
	v_cndmask_b32_e64 v1, 0, 1, s6
	v_mov_b32_e32 v10, s5
	s_and_not1_b32 vcc_lo, exec_lo, s6
	s_cbranch_vccz .LBB85_16
.LBB85_2:
	s_delay_alu instid0(VALU_DEP_2)
	v_cmp_ne_u32_e32 vcc_lo, 1, v1
	v_mov_b32_e32 v7, s2
	s_cbranch_vccz .LBB85_17
.LBB85_3:
	v_cmp_ne_u32_e32 vcc_lo, 1, v1
	v_mov_b32_e32 v8, s3
	s_cbranch_vccnz .LBB85_5
.LBB85_4:
	v_dual_mov_b32 v1, s2 :: v_dual_mov_b32 v2, s3
	flat_load_b32 v8, v[1:2] offset:4
.LBB85_5:
	s_waitcnt vmcnt(0) lgkmcnt(0)
	v_cmp_eq_f32_e32 vcc_lo, 0, v9
	v_cmp_eq_f32_e64 s2, 0, v10
	s_delay_alu instid0(VALU_DEP_1)
	s_and_b32 s4, vcc_lo, s2
	s_mov_b32 s2, -1
	s_and_saveexec_b32 s3, s4
; %bb.6:
	v_cmp_neq_f32_e32 vcc_lo, 1.0, v7
	v_cmp_neq_f32_e64 s2, 0, v8
	s_delay_alu instid0(VALU_DEP_1) | instskip(NEXT) | instid1(SALU_CYCLE_1)
	s_or_b32 s2, vcc_lo, s2
	s_or_not1_b32 s2, s2, exec_lo
; %bb.7:
	s_or_b32 exec_lo, exec_lo, s3
	s_and_saveexec_b32 s3, s2
	s_cbranch_execz .LBB85_43
; %bb.8:
	s_clause 0x1
	s_load_b32 s4, s[0:1], 0x4
	s_load_b64 s[2:3], s[0:1], 0x10
	v_and_b32_e32 v11, 7, v0
	s_delay_alu instid0(VALU_DEP_1) | instskip(SKIP_3) | instid1(SALU_CYCLE_1)
	v_mov_b32_e32 v12, v11
	s_waitcnt lgkmcnt(0)
	s_cmp_lg_u32 s4, 1
	s_cselect_b32 s11, -1, 0
	s_and_b32 vcc_lo, exec_lo, s11
	s_cbranch_vccnz .LBB85_10
; %bb.9:
	v_mul_u32_u24_e32 v1, 0x124a, v0
	s_delay_alu instid0(VALU_DEP_1)
	v_bfe_u32 v12, v1, 16, 3
.LBB85_10:
	s_ashr_i32 s9, s8, 31
	v_dual_mov_b32 v2, 0 :: v_dual_mov_b32 v1, 0
	s_lshl_b64 s[4:5], s[8:9], 2
	s_delay_alu instid0(SALU_CYCLE_1)
	s_add_u32 s2, s2, s4
	s_addc_u32 s3, s3, s5
	s_load_b64 s[12:13], s[2:3], 0x0
	s_load_b64 s[2:3], s[0:1], 0x40
	s_waitcnt lgkmcnt(0)
	s_cmp_ge_i32 s12, s13
	s_cbranch_scc1 .LBB85_18
; %bb.11:
	s_clause 0x1
	s_load_b128 s[4:7], s[0:1], 0x18
	s_load_b64 s[0:1], s[0:1], 0x30
	v_mad_u64_u32 v[1:2], null, 0x70, s12, v[0:1]
	v_mul_u32_u24_e32 v3, 0x24a, v0
	v_mov_b32_e32 v2, 0
	s_mul_i32 s9, s10, 0x70
	v_mov_b32_e32 v4, 0
	s_sub_i32 s12, s12, s10
	v_lshrrev_b32_e32 v13, 16, v3
	v_subrev_nc_u32_e32 v3, s9, v1
	v_mov_b32_e32 v1, v2
	s_sub_i32 s9, s13, s10
	s_set_inst_prefetch_distance 0x1
	s_branch .LBB85_13
	.p2align	6
.LBB85_12:                              ;   in Loop: Header=BB85_13 Depth=1
	s_or_b32 exec_lo, exec_lo, s13
	v_add_nc_u32_e32 v3, 0x70, v3
	s_add_i32 s12, s12, 1
	s_delay_alu instid0(SALU_CYCLE_1)
	s_cmp_ge_i32 s12, s9
	s_cbranch_scc1 .LBB85_18
.LBB85_13:                              ; =>This Inner Loop Header: Depth=1
	v_add_nc_u32_e32 v5, s12, v13
	s_mov_b32 s13, exec_lo
	s_delay_alu instid0(VALU_DEP_1)
	v_cmpx_gt_i32_e64 s9, v5
	s_cbranch_execz .LBB85_12
; %bb.14:                               ;   in Loop: Header=BB85_13 Depth=1
	v_ashrrev_i32_e32 v6, 31, v5
	v_lshlrev_b64 v[14:15], 3, v[3:4]
	s_delay_alu instid0(VALU_DEP_2) | instskip(SKIP_1) | instid1(VALU_DEP_1)
	v_lshlrev_b64 v[5:6], 2, v[5:6]
	s_waitcnt lgkmcnt(0)
	v_add_co_u32 v5, vcc_lo, s4, v5
	s_delay_alu instid0(VALU_DEP_2) | instskip(NEXT) | instid1(VALU_DEP_4)
	v_add_co_ci_u32_e32 v6, vcc_lo, s5, v6, vcc_lo
	v_add_co_u32 v14, vcc_lo, s6, v14
	v_add_co_ci_u32_e32 v15, vcc_lo, s7, v15, vcc_lo
	global_load_b32 v5, v[5:6], off
	s_waitcnt vmcnt(0)
	v_subrev_nc_u32_e32 v5, s10, v5
	s_delay_alu instid0(VALU_DEP_1) | instskip(NEXT) | instid1(VALU_DEP_1)
	v_lshl_or_b32 v5, v5, 3, v12
	v_ashrrev_i32_e32 v6, 31, v5
	s_delay_alu instid0(VALU_DEP_1) | instskip(NEXT) | instid1(VALU_DEP_1)
	v_lshlrev_b64 v[5:6], 3, v[5:6]
	v_add_co_u32 v5, vcc_lo, s0, v5
	s_delay_alu instid0(VALU_DEP_2)
	v_add_co_ci_u32_e32 v6, vcc_lo, s1, v6, vcc_lo
	global_load_b64 v[14:15], v[14:15], off
	global_load_b64 v[5:6], v[5:6], off
	s_waitcnt vmcnt(0)
	v_fmac_f32_e32 v1, v14, v5
	v_fmac_f32_e32 v2, v15, v5
	s_delay_alu instid0(VALU_DEP_2) | instskip(NEXT) | instid1(VALU_DEP_2)
	v_fma_f32 v1, -v15, v6, v1
	v_fmac_f32_e32 v2, v14, v6
	s_branch .LBB85_12
.LBB85_15:
	v_dual_mov_b32 v1, s4 :: v_dual_mov_b32 v2, s5
	flat_load_b32 v9, v[1:2]
	v_cndmask_b32_e64 v1, 0, 1, s6
	v_mov_b32_e32 v10, s5
	s_and_not1_b32 vcc_lo, exec_lo, s6
	s_cbranch_vccnz .LBB85_2
.LBB85_16:
	v_dual_mov_b32 v2, s4 :: v_dual_mov_b32 v3, s5
	flat_load_b32 v10, v[2:3] offset:4
	v_cmp_ne_u32_e32 vcc_lo, 1, v1
	v_mov_b32_e32 v7, s2
	s_cbranch_vccnz .LBB85_3
.LBB85_17:
	v_dual_mov_b32 v2, s2 :: v_dual_mov_b32 v3, s3
	flat_load_b32 v7, v[2:3]
	v_cmp_ne_u32_e32 vcc_lo, 1, v1
	v_mov_b32_e32 v8, s3
	s_cbranch_vccz .LBB85_4
	s_branch .LBB85_5
.LBB85_18:
	s_set_inst_prefetch_distance 0x2
	v_lshlrev_b32_e32 v5, 3, v0
	s_and_b32 vcc_lo, exec_lo, s11
	ds_store_b64 v5, v[1:2]
	s_waitcnt lgkmcnt(0)
	s_barrier
	buffer_gl0_inv
	s_cbranch_vccz .LBB85_28
; %bb.19:
	s_mov_b32 s0, exec_lo
	v_cmpx_gt_u32_e32 4, v11
	s_cbranch_execz .LBB85_21
; %bb.20:
	ds_load_2addr_b64 v[12:15], v5 offset1:4
	s_waitcnt lgkmcnt(0)
	v_dual_add_f32 v3, v14, v12 :: v_dual_add_f32 v4, v15, v13
	ds_store_b64 v5, v[3:4]
.LBB85_21:
	s_or_b32 exec_lo, exec_lo, s0
	s_delay_alu instid0(SALU_CYCLE_1)
	s_mov_b32 s0, exec_lo
	s_waitcnt lgkmcnt(0)
	s_barrier
	buffer_gl0_inv
	v_cmpx_gt_u32_e32 2, v11
	s_cbranch_execz .LBB85_23
; %bb.22:
	ds_load_2addr_b64 v[12:15], v5 offset1:2
	s_waitcnt lgkmcnt(0)
	v_dual_add_f32 v3, v14, v12 :: v_dual_add_f32 v4, v15, v13
	ds_store_b64 v5, v[3:4]
.LBB85_23:
	s_or_b32 exec_lo, exec_lo, s0
	s_delay_alu instid0(SALU_CYCLE_1)
	s_mov_b32 s0, exec_lo
	s_waitcnt lgkmcnt(0)
	s_barrier
	buffer_gl0_inv
	v_cmpx_eq_u32_e32 0, v11
	s_cbranch_execz .LBB85_25
; %bb.24:
	ds_load_2addr_b64 v[11:14], v5 offset1:1
	s_waitcnt lgkmcnt(0)
	v_dual_add_f32 v3, v13, v11 :: v_dual_add_f32 v4, v14, v12
	ds_store_b64 v5, v[3:4]
.LBB85_25:
	s_or_b32 exec_lo, exec_lo, s0
	v_dual_mov_b32 v4, v2 :: v_dual_mov_b32 v3, v1
	s_mov_b32 s0, exec_lo
	s_waitcnt lgkmcnt(0)
	s_barrier
	buffer_gl0_inv
	v_cmpx_gt_u32_e32 14, v0
	s_cbranch_execz .LBB85_27
; %bb.26:
	v_mad_u32_u24 v3, v0, 56, v5
	ds_load_b64 v[3:4], v3
.LBB85_27:
	s_or_b32 exec_lo, exec_lo, s0
	s_branch .LBB85_38
.LBB85_28:
                                        ; implicit-def: $vgpr4
	s_cbranch_execz .LBB85_38
; %bb.29:
	s_mov_b32 s0, exec_lo
	v_cmpx_gt_u32_e32 56, v0
	s_cbranch_execz .LBB85_31
; %bb.30:
	ds_load_2addr_b64 v[11:14], v5 offset1:56
	s_waitcnt lgkmcnt(0)
	v_dual_add_f32 v3, v13, v11 :: v_dual_add_f32 v4, v14, v12
	ds_store_b64 v5, v[3:4]
.LBB85_31:
	s_or_b32 exec_lo, exec_lo, s0
	s_delay_alu instid0(SALU_CYCLE_1)
	s_mov_b32 s0, exec_lo
	s_waitcnt lgkmcnt(0)
	s_barrier
	buffer_gl0_inv
	v_cmpx_gt_u32_e32 28, v0
	s_cbranch_execz .LBB85_33
; %bb.32:
	ds_load_2addr_b64 v[11:14], v5 offset1:28
	s_waitcnt lgkmcnt(0)
	v_dual_add_f32 v3, v13, v11 :: v_dual_add_f32 v4, v14, v12
	ds_store_b64 v5, v[3:4]
.LBB85_33:
	s_or_b32 exec_lo, exec_lo, s0
	s_delay_alu instid0(SALU_CYCLE_1)
	s_mov_b32 s0, exec_lo
	s_waitcnt lgkmcnt(0)
	buffer_gl0_inv
	v_cmpx_lt_u32_e32 13, v0
	s_xor_b32 s0, exec_lo, s0
	s_cbranch_execz .LBB85_35
; %bb.34:
	buffer_gl0_inv
                                        ; implicit-def: $vgpr5
.LBB85_35:
	s_and_not1_saveexec_b32 s0, s0
	s_cbranch_execz .LBB85_37
; %bb.36:
	ds_load_2addr_b64 v[1:4], v5 offset1:14
	s_waitcnt lgkmcnt(0)
	v_dual_add_f32 v1, v3, v1 :: v_dual_add_f32 v2, v4, v2
	ds_store_b64 v5, v[1:2]
	s_waitcnt lgkmcnt(0)
	buffer_gl0_inv
	ds_load_b64 v[1:2], v5
.LBB85_37:
	s_or_b32 exec_lo, exec_lo, s0
	s_waitcnt lgkmcnt(0)
	v_dual_mov_b32 v4, v2 :: v_dual_mov_b32 v3, v1
.LBB85_38:
	v_cmp_gt_u32_e32 vcc_lo, 14, v0
	s_and_b32 exec_lo, exec_lo, vcc_lo
	s_cbranch_execz .LBB85_43
; %bb.39:
	s_waitcnt lgkmcnt(0)
	v_mul_f32_e64 v1, v4, -v10
	v_mul_f32_e32 v2, v4, v9
	v_cmp_eq_f32_e32 vcc_lo, 0, v7
	v_cmp_eq_f32_e64 s0, 0, v8
	s_delay_alu instid0(VALU_DEP_4) | instskip(NEXT) | instid1(VALU_DEP_4)
	v_fmac_f32_e32 v1, v9, v3
	v_fmac_f32_e32 v2, v10, v3
	s_delay_alu instid0(VALU_DEP_3) | instskip(NEXT) | instid1(SALU_CYCLE_1)
	s_and_b32 s0, vcc_lo, s0
	s_and_saveexec_b32 s1, s0
	s_delay_alu instid0(SALU_CYCLE_1)
	s_xor_b32 s0, exec_lo, s1
	s_cbranch_execz .LBB85_41
; %bb.40:
	v_mad_u64_u32 v[3:4], null, s8, 14, v[0:1]
	v_mov_b32_e32 v4, 0
                                        ; implicit-def: $vgpr0
                                        ; implicit-def: $vgpr7
                                        ; implicit-def: $vgpr8
	s_delay_alu instid0(VALU_DEP_1) | instskip(NEXT) | instid1(VALU_DEP_1)
	v_lshlrev_b64 v[3:4], 3, v[3:4]
	v_add_co_u32 v3, vcc_lo, s2, v3
	s_delay_alu instid0(VALU_DEP_2)
	v_add_co_ci_u32_e32 v4, vcc_lo, s3, v4, vcc_lo
	global_store_b64 v[3:4], v[1:2], off
                                        ; implicit-def: $vgpr1
.LBB85_41:
	s_and_not1_saveexec_b32 s0, s0
	s_cbranch_execz .LBB85_43
; %bb.42:
	v_mad_u64_u32 v[3:4], null, s8, 14, v[0:1]
	v_mov_b32_e32 v4, 0
	s_delay_alu instid0(VALU_DEP_1) | instskip(NEXT) | instid1(VALU_DEP_1)
	v_lshlrev_b64 v[3:4], 3, v[3:4]
	v_add_co_u32 v3, vcc_lo, s2, v3
	s_delay_alu instid0(VALU_DEP_2) | instskip(SKIP_4) | instid1(VALU_DEP_2)
	v_add_co_ci_u32_e32 v4, vcc_lo, s3, v4, vcc_lo
	global_load_b64 v[5:6], v[3:4], off
	s_waitcnt vmcnt(0)
	v_fmac_f32_e32 v1, v7, v5
	v_fmac_f32_e32 v2, v8, v5
	v_fma_f32 v1, -v8, v6, v1
	s_delay_alu instid0(VALU_DEP_2)
	v_fmac_f32_e32 v2, v7, v6
	global_store_b64 v[3:4], v[1:2], off
.LBB85_43:
	s_nop 0
	s_sendmsg sendmsg(MSG_DEALLOC_VGPRS)
	s_endpgm
	.section	.rodata,"a",@progbits
	.p2align	6, 0x0
	.amdhsa_kernel _ZN9rocsparseL22gebsrmvn_mxn_16_kernelILj112ELj14ELj8E21rocsparse_complex_numIfEEEvi20rocsparse_direction_NS_24const_host_device_scalarIT2_EEPKiS8_PKS5_iiSA_S6_PS5_21rocsparse_index_base_b
		.amdhsa_group_segment_fixed_size 896
		.amdhsa_private_segment_fixed_size 0
		.amdhsa_kernarg_size 80
		.amdhsa_user_sgpr_count 15
		.amdhsa_user_sgpr_dispatch_ptr 0
		.amdhsa_user_sgpr_queue_ptr 0
		.amdhsa_user_sgpr_kernarg_segment_ptr 1
		.amdhsa_user_sgpr_dispatch_id 0
		.amdhsa_user_sgpr_private_segment_size 0
		.amdhsa_wavefront_size32 1
		.amdhsa_uses_dynamic_stack 0
		.amdhsa_enable_private_segment 0
		.amdhsa_system_sgpr_workgroup_id_x 1
		.amdhsa_system_sgpr_workgroup_id_y 0
		.amdhsa_system_sgpr_workgroup_id_z 0
		.amdhsa_system_sgpr_workgroup_info 0
		.amdhsa_system_vgpr_workitem_id 0
		.amdhsa_next_free_vgpr 16
		.amdhsa_next_free_sgpr 16
		.amdhsa_reserve_vcc 1
		.amdhsa_float_round_mode_32 0
		.amdhsa_float_round_mode_16_64 0
		.amdhsa_float_denorm_mode_32 3
		.amdhsa_float_denorm_mode_16_64 3
		.amdhsa_dx10_clamp 1
		.amdhsa_ieee_mode 1
		.amdhsa_fp16_overflow 0
		.amdhsa_workgroup_processor_mode 1
		.amdhsa_memory_ordered 1
		.amdhsa_forward_progress 0
		.amdhsa_shared_vgpr_count 0
		.amdhsa_exception_fp_ieee_invalid_op 0
		.amdhsa_exception_fp_denorm_src 0
		.amdhsa_exception_fp_ieee_div_zero 0
		.amdhsa_exception_fp_ieee_overflow 0
		.amdhsa_exception_fp_ieee_underflow 0
		.amdhsa_exception_fp_ieee_inexact 0
		.amdhsa_exception_int_div_zero 0
	.end_amdhsa_kernel
	.section	.text._ZN9rocsparseL22gebsrmvn_mxn_16_kernelILj112ELj14ELj8E21rocsparse_complex_numIfEEEvi20rocsparse_direction_NS_24const_host_device_scalarIT2_EEPKiS8_PKS5_iiSA_S6_PS5_21rocsparse_index_base_b,"axG",@progbits,_ZN9rocsparseL22gebsrmvn_mxn_16_kernelILj112ELj14ELj8E21rocsparse_complex_numIfEEEvi20rocsparse_direction_NS_24const_host_device_scalarIT2_EEPKiS8_PKS5_iiSA_S6_PS5_21rocsparse_index_base_b,comdat
.Lfunc_end85:
	.size	_ZN9rocsparseL22gebsrmvn_mxn_16_kernelILj112ELj14ELj8E21rocsparse_complex_numIfEEEvi20rocsparse_direction_NS_24const_host_device_scalarIT2_EEPKiS8_PKS5_iiSA_S6_PS5_21rocsparse_index_base_b, .Lfunc_end85-_ZN9rocsparseL22gebsrmvn_mxn_16_kernelILj112ELj14ELj8E21rocsparse_complex_numIfEEEvi20rocsparse_direction_NS_24const_host_device_scalarIT2_EEPKiS8_PKS5_iiSA_S6_PS5_21rocsparse_index_base_b
                                        ; -- End function
	.section	.AMDGPU.csdata,"",@progbits
; Kernel info:
; codeLenInByte = 1444
; NumSgprs: 18
; NumVgprs: 16
; ScratchSize: 0
; MemoryBound: 0
; FloatMode: 240
; IeeeMode: 1
; LDSByteSize: 896 bytes/workgroup (compile time only)
; SGPRBlocks: 2
; VGPRBlocks: 1
; NumSGPRsForWavesPerEU: 18
; NumVGPRsForWavesPerEU: 16
; Occupancy: 16
; WaveLimiterHint : 1
; COMPUTE_PGM_RSRC2:SCRATCH_EN: 0
; COMPUTE_PGM_RSRC2:USER_SGPR: 15
; COMPUTE_PGM_RSRC2:TRAP_HANDLER: 0
; COMPUTE_PGM_RSRC2:TGID_X_EN: 1
; COMPUTE_PGM_RSRC2:TGID_Y_EN: 0
; COMPUTE_PGM_RSRC2:TGID_Z_EN: 0
; COMPUTE_PGM_RSRC2:TIDIG_COMP_CNT: 0
	.section	.text._ZN9rocsparseL22gebsrmvn_mxn_16_kernelILj60ELj15ELj1E21rocsparse_complex_numIfEEEvi20rocsparse_direction_NS_24const_host_device_scalarIT2_EEPKiS8_PKS5_iiSA_S6_PS5_21rocsparse_index_base_b,"axG",@progbits,_ZN9rocsparseL22gebsrmvn_mxn_16_kernelILj60ELj15ELj1E21rocsparse_complex_numIfEEEvi20rocsparse_direction_NS_24const_host_device_scalarIT2_EEPKiS8_PKS5_iiSA_S6_PS5_21rocsparse_index_base_b,comdat
	.globl	_ZN9rocsparseL22gebsrmvn_mxn_16_kernelILj60ELj15ELj1E21rocsparse_complex_numIfEEEvi20rocsparse_direction_NS_24const_host_device_scalarIT2_EEPKiS8_PKS5_iiSA_S6_PS5_21rocsparse_index_base_b ; -- Begin function _ZN9rocsparseL22gebsrmvn_mxn_16_kernelILj60ELj15ELj1E21rocsparse_complex_numIfEEEvi20rocsparse_direction_NS_24const_host_device_scalarIT2_EEPKiS8_PKS5_iiSA_S6_PS5_21rocsparse_index_base_b
	.p2align	8
	.type	_ZN9rocsparseL22gebsrmvn_mxn_16_kernelILj60ELj15ELj1E21rocsparse_complex_numIfEEEvi20rocsparse_direction_NS_24const_host_device_scalarIT2_EEPKiS8_PKS5_iiSA_S6_PS5_21rocsparse_index_base_b,@function
_ZN9rocsparseL22gebsrmvn_mxn_16_kernelILj60ELj15ELj1E21rocsparse_complex_numIfEEEvi20rocsparse_direction_NS_24const_host_device_scalarIT2_EEPKiS8_PKS5_iiSA_S6_PS5_21rocsparse_index_base_b: ; @_ZN9rocsparseL22gebsrmvn_mxn_16_kernelILj60ELj15ELj1E21rocsparse_complex_numIfEEEvi20rocsparse_direction_NS_24const_host_device_scalarIT2_EEPKiS8_PKS5_iiSA_S6_PS5_21rocsparse_index_base_b
; %bb.0:
	s_clause 0x2
	s_load_b64 s[10:11], s[0:1], 0x48
	s_load_b64 s[4:5], s[0:1], 0x8
	;; [unrolled: 1-line block ×3, first 2 shown]
	s_mov_b32 s8, s15
	s_waitcnt lgkmcnt(0)
	s_bitcmp1_b32 s11, 0
	v_mov_b32_e32 v9, s4
	s_cselect_b32 s6, -1, 0
	s_delay_alu instid0(SALU_CYCLE_1)
	s_and_b32 vcc_lo, exec_lo, s6
	s_xor_b32 s6, s6, -1
	s_cbranch_vccz .LBB86_10
; %bb.1:
	v_cndmask_b32_e64 v1, 0, 1, s6
	v_mov_b32_e32 v10, s5
	s_and_not1_b32 vcc_lo, exec_lo, s6
	s_cbranch_vccz .LBB86_11
.LBB86_2:
	s_delay_alu instid0(VALU_DEP_2)
	v_cmp_ne_u32_e32 vcc_lo, 1, v1
	v_mov_b32_e32 v7, s2
	s_cbranch_vccz .LBB86_12
.LBB86_3:
	v_cmp_ne_u32_e32 vcc_lo, 1, v1
	v_mov_b32_e32 v8, s3
	s_cbranch_vccnz .LBB86_5
.LBB86_4:
	v_dual_mov_b32 v1, s2 :: v_dual_mov_b32 v2, s3
	flat_load_b32 v8, v[1:2] offset:4
.LBB86_5:
	s_waitcnt vmcnt(0) lgkmcnt(0)
	v_cmp_eq_f32_e32 vcc_lo, 0, v9
	v_cmp_eq_f32_e64 s2, 0, v10
	s_delay_alu instid0(VALU_DEP_1)
	s_and_b32 s4, vcc_lo, s2
	s_mov_b32 s2, -1
	s_and_saveexec_b32 s3, s4
; %bb.6:
	v_cmp_neq_f32_e32 vcc_lo, 1.0, v7
	v_cmp_neq_f32_e64 s2, 0, v8
	s_delay_alu instid0(VALU_DEP_1) | instskip(NEXT) | instid1(SALU_CYCLE_1)
	s_or_b32 s2, vcc_lo, s2
	s_or_not1_b32 s2, s2, exec_lo
; %bb.7:
	s_or_b32 exec_lo, exec_lo, s3
	s_and_saveexec_b32 s3, s2
	s_cbranch_execz .LBB86_30
; %bb.8:
	s_load_b64 s[2:3], s[0:1], 0x10
	s_ashr_i32 s9, s8, 31
	s_delay_alu instid0(SALU_CYCLE_1)
	s_lshl_b64 s[4:5], s[8:9], 2
	s_waitcnt lgkmcnt(0)
	s_add_u32 s2, s2, s4
	s_addc_u32 s3, s3, s5
	s_load_b64 s[12:13], s[2:3], 0x0
	s_waitcnt lgkmcnt(0)
	s_cmp_lt_i32 s12, s13
	s_cbranch_scc1 .LBB86_13
; %bb.9:
	s_mov_b32 s4, 0
	s_mov_b32 s5, 0
	s_branch .LBB86_14
.LBB86_10:
	v_dual_mov_b32 v1, s4 :: v_dual_mov_b32 v2, s5
	flat_load_b32 v9, v[1:2]
	v_cndmask_b32_e64 v1, 0, 1, s6
	v_mov_b32_e32 v10, s5
	s_and_not1_b32 vcc_lo, exec_lo, s6
	s_cbranch_vccnz .LBB86_2
.LBB86_11:
	v_dual_mov_b32 v2, s4 :: v_dual_mov_b32 v3, s5
	flat_load_b32 v10, v[2:3] offset:4
	v_cmp_ne_u32_e32 vcc_lo, 1, v1
	v_mov_b32_e32 v7, s2
	s_cbranch_vccnz .LBB86_3
.LBB86_12:
	v_dual_mov_b32 v2, s2 :: v_dual_mov_b32 v3, s3
	flat_load_b32 v7, v[2:3]
	v_cmp_ne_u32_e32 vcc_lo, 1, v1
	v_mov_b32_e32 v8, s3
	s_cbranch_vccz .LBB86_4
	s_branch .LBB86_5
.LBB86_13:
	s_mov_b32 s4, -1
                                        ; implicit-def: $sgpr5
.LBB86_14:
	s_load_b64 s[2:3], s[0:1], 0x40
	v_dual_mov_b32 v2, s5 :: v_dual_mov_b32 v1, s5
	s_and_not1_b32 vcc_lo, exec_lo, s4
	s_cbranch_vccnz .LBB86_19
; %bb.15:
	s_clause 0x1
	s_load_b128 s[4:7], s[0:1], 0x18
	s_load_b64 s[0:1], s[0:1], 0x30
	v_mad_u64_u32 v[1:2], null, s12, 15, v[0:1]
	v_mul_u32_u24_e32 v3, 0x1112, v0
	v_mov_b32_e32 v2, 0
	s_mul_i32 s9, s10, 15
	v_mov_b32_e32 v4, 0
	s_sub_i32 s11, s12, s10
	v_lshrrev_b32_e32 v11, 16, v3
	v_subrev_nc_u32_e32 v3, s9, v1
	v_mov_b32_e32 v1, v2
	s_sub_i32 s9, s13, s10
	s_set_inst_prefetch_distance 0x1
	s_branch .LBB86_17
	.p2align	6
.LBB86_16:                              ;   in Loop: Header=BB86_17 Depth=1
	s_or_b32 exec_lo, exec_lo, s12
	v_add_nc_u32_e32 v3, 60, v3
	s_add_i32 s11, s11, 4
	s_delay_alu instid0(SALU_CYCLE_1)
	s_cmp_ge_i32 s11, s9
	s_cbranch_scc1 .LBB86_19
.LBB86_17:                              ; =>This Inner Loop Header: Depth=1
	v_add_nc_u32_e32 v5, s11, v11
	s_mov_b32 s12, exec_lo
	s_delay_alu instid0(VALU_DEP_1)
	v_cmpx_gt_i32_e64 s9, v5
	s_cbranch_execz .LBB86_16
; %bb.18:                               ;   in Loop: Header=BB86_17 Depth=1
	v_ashrrev_i32_e32 v6, 31, v5
	v_lshlrev_b64 v[12:13], 3, v[3:4]
	s_delay_alu instid0(VALU_DEP_2) | instskip(SKIP_1) | instid1(VALU_DEP_1)
	v_lshlrev_b64 v[5:6], 2, v[5:6]
	s_waitcnt lgkmcnt(0)
	v_add_co_u32 v5, vcc_lo, s4, v5
	s_delay_alu instid0(VALU_DEP_2) | instskip(NEXT) | instid1(VALU_DEP_4)
	v_add_co_ci_u32_e32 v6, vcc_lo, s5, v6, vcc_lo
	v_add_co_u32 v12, vcc_lo, s6, v12
	v_add_co_ci_u32_e32 v13, vcc_lo, s7, v13, vcc_lo
	global_load_b32 v5, v[5:6], off
	s_waitcnt vmcnt(0)
	v_subrev_nc_u32_e32 v5, s10, v5
	s_delay_alu instid0(VALU_DEP_1) | instskip(NEXT) | instid1(VALU_DEP_1)
	v_ashrrev_i32_e32 v6, 31, v5
	v_lshlrev_b64 v[5:6], 3, v[5:6]
	s_delay_alu instid0(VALU_DEP_1) | instskip(NEXT) | instid1(VALU_DEP_2)
	v_add_co_u32 v5, vcc_lo, s0, v5
	v_add_co_ci_u32_e32 v6, vcc_lo, s1, v6, vcc_lo
	global_load_b64 v[12:13], v[12:13], off
	global_load_b64 v[5:6], v[5:6], off
	s_waitcnt vmcnt(0)
	v_fmac_f32_e32 v1, v12, v5
	v_fmac_f32_e32 v2, v13, v5
	s_delay_alu instid0(VALU_DEP_2) | instskip(NEXT) | instid1(VALU_DEP_2)
	v_fma_f32 v1, -v13, v6, v1
	v_fmac_f32_e32 v2, v12, v6
	s_branch .LBB86_16
.LBB86_19:
	s_set_inst_prefetch_distance 0x2
	v_lshlrev_b32_e32 v3, 3, v0
	s_waitcnt lgkmcnt(0)
	s_mov_b32 s0, exec_lo
	ds_store_b64 v3, v[1:2]
	s_waitcnt lgkmcnt(0)
	s_barrier
	buffer_gl0_inv
	v_cmpx_gt_u32_e32 30, v0
	s_cbranch_execz .LBB86_21
; %bb.20:
	ds_load_2addr_b64 v[11:14], v3 offset1:30
	s_waitcnt lgkmcnt(0)
	v_dual_add_f32 v4, v13, v11 :: v_dual_add_f32 v5, v14, v12
	ds_store_b64 v3, v[4:5]
.LBB86_21:
	s_or_b32 exec_lo, exec_lo, s0
	v_cmp_gt_u32_e32 vcc_lo, 15, v0
	s_waitcnt lgkmcnt(0)
	s_barrier
	buffer_gl0_inv
	s_and_saveexec_b32 s0, vcc_lo
	s_cbranch_execz .LBB86_23
; %bb.22:
	ds_load_2addr_b64 v[11:14], v3 offset1:15
	s_waitcnt lgkmcnt(0)
	v_dual_add_f32 v4, v13, v11 :: v_dual_add_f32 v5, v14, v12
	ds_store_b64 v3, v[4:5]
.LBB86_23:
	s_or_b32 exec_lo, exec_lo, s0
	s_waitcnt lgkmcnt(0)
	s_barrier
	buffer_gl0_inv
	s_and_saveexec_b32 s0, vcc_lo
	s_cbranch_execz .LBB86_25
; %bb.24:
	ds_load_b64 v[1:2], v3
.LBB86_25:
	s_or_b32 exec_lo, exec_lo, s0
	s_delay_alu instid0(SALU_CYCLE_1)
	s_and_b32 exec_lo, exec_lo, vcc_lo
	s_cbranch_execz .LBB86_30
; %bb.26:
	s_waitcnt lgkmcnt(0)
	v_mul_f32_e64 v3, v2, -v10
	v_mul_f32_e32 v4, v2, v9
	v_cmp_eq_f32_e32 vcc_lo, 0, v7
	v_cmp_eq_f32_e64 s0, 0, v8
	s_delay_alu instid0(VALU_DEP_4) | instskip(NEXT) | instid1(VALU_DEP_4)
	v_fmac_f32_e32 v3, v9, v1
	v_fmac_f32_e32 v4, v10, v1
	s_delay_alu instid0(VALU_DEP_3) | instskip(NEXT) | instid1(SALU_CYCLE_1)
	s_and_b32 s0, vcc_lo, s0
	s_and_saveexec_b32 s1, s0
	s_delay_alu instid0(SALU_CYCLE_1)
	s_xor_b32 s0, exec_lo, s1
	s_cbranch_execz .LBB86_28
; %bb.27:
	v_mad_u64_u32 v[1:2], null, s8, 15, v[0:1]
	v_mov_b32_e32 v2, 0
                                        ; implicit-def: $vgpr7
                                        ; implicit-def: $vgpr8
	s_delay_alu instid0(VALU_DEP_1) | instskip(NEXT) | instid1(VALU_DEP_1)
	v_lshlrev_b64 v[0:1], 3, v[1:2]
	v_add_co_u32 v0, vcc_lo, s2, v0
	s_delay_alu instid0(VALU_DEP_2)
	v_add_co_ci_u32_e32 v1, vcc_lo, s3, v1, vcc_lo
	global_store_b64 v[0:1], v[3:4], off
                                        ; implicit-def: $vgpr0
                                        ; implicit-def: $vgpr3
.LBB86_28:
	s_and_not1_saveexec_b32 s0, s0
	s_cbranch_execz .LBB86_30
; %bb.29:
	v_mad_u64_u32 v[1:2], null, s8, 15, v[0:1]
	v_mov_b32_e32 v2, 0
	s_delay_alu instid0(VALU_DEP_1) | instskip(NEXT) | instid1(VALU_DEP_1)
	v_lshlrev_b64 v[0:1], 3, v[1:2]
	v_add_co_u32 v0, vcc_lo, s2, v0
	s_delay_alu instid0(VALU_DEP_2) | instskip(SKIP_4) | instid1(VALU_DEP_2)
	v_add_co_ci_u32_e32 v1, vcc_lo, s3, v1, vcc_lo
	global_load_b64 v[5:6], v[0:1], off
	s_waitcnt vmcnt(0)
	v_fmac_f32_e32 v3, v7, v5
	v_fmac_f32_e32 v4, v8, v5
	v_fma_f32 v3, -v8, v6, v3
	s_delay_alu instid0(VALU_DEP_2)
	v_fmac_f32_e32 v4, v7, v6
	global_store_b64 v[0:1], v[3:4], off
.LBB86_30:
	s_nop 0
	s_sendmsg sendmsg(MSG_DEALLOC_VGPRS)
	s_endpgm
	.section	.rodata,"a",@progbits
	.p2align	6, 0x0
	.amdhsa_kernel _ZN9rocsparseL22gebsrmvn_mxn_16_kernelILj60ELj15ELj1E21rocsparse_complex_numIfEEEvi20rocsparse_direction_NS_24const_host_device_scalarIT2_EEPKiS8_PKS5_iiSA_S6_PS5_21rocsparse_index_base_b
		.amdhsa_group_segment_fixed_size 480
		.amdhsa_private_segment_fixed_size 0
		.amdhsa_kernarg_size 80
		.amdhsa_user_sgpr_count 15
		.amdhsa_user_sgpr_dispatch_ptr 0
		.amdhsa_user_sgpr_queue_ptr 0
		.amdhsa_user_sgpr_kernarg_segment_ptr 1
		.amdhsa_user_sgpr_dispatch_id 0
		.amdhsa_user_sgpr_private_segment_size 0
		.amdhsa_wavefront_size32 1
		.amdhsa_uses_dynamic_stack 0
		.amdhsa_enable_private_segment 0
		.amdhsa_system_sgpr_workgroup_id_x 1
		.amdhsa_system_sgpr_workgroup_id_y 0
		.amdhsa_system_sgpr_workgroup_id_z 0
		.amdhsa_system_sgpr_workgroup_info 0
		.amdhsa_system_vgpr_workitem_id 0
		.amdhsa_next_free_vgpr 15
		.amdhsa_next_free_sgpr 16
		.amdhsa_reserve_vcc 1
		.amdhsa_float_round_mode_32 0
		.amdhsa_float_round_mode_16_64 0
		.amdhsa_float_denorm_mode_32 3
		.amdhsa_float_denorm_mode_16_64 3
		.amdhsa_dx10_clamp 1
		.amdhsa_ieee_mode 1
		.amdhsa_fp16_overflow 0
		.amdhsa_workgroup_processor_mode 1
		.amdhsa_memory_ordered 1
		.amdhsa_forward_progress 0
		.amdhsa_shared_vgpr_count 0
		.amdhsa_exception_fp_ieee_invalid_op 0
		.amdhsa_exception_fp_denorm_src 0
		.amdhsa_exception_fp_ieee_div_zero 0
		.amdhsa_exception_fp_ieee_overflow 0
		.amdhsa_exception_fp_ieee_underflow 0
		.amdhsa_exception_fp_ieee_inexact 0
		.amdhsa_exception_int_div_zero 0
	.end_amdhsa_kernel
	.section	.text._ZN9rocsparseL22gebsrmvn_mxn_16_kernelILj60ELj15ELj1E21rocsparse_complex_numIfEEEvi20rocsparse_direction_NS_24const_host_device_scalarIT2_EEPKiS8_PKS5_iiSA_S6_PS5_21rocsparse_index_base_b,"axG",@progbits,_ZN9rocsparseL22gebsrmvn_mxn_16_kernelILj60ELj15ELj1E21rocsparse_complex_numIfEEEvi20rocsparse_direction_NS_24const_host_device_scalarIT2_EEPKiS8_PKS5_iiSA_S6_PS5_21rocsparse_index_base_b,comdat
.Lfunc_end86:
	.size	_ZN9rocsparseL22gebsrmvn_mxn_16_kernelILj60ELj15ELj1E21rocsparse_complex_numIfEEEvi20rocsparse_direction_NS_24const_host_device_scalarIT2_EEPKiS8_PKS5_iiSA_S6_PS5_21rocsparse_index_base_b, .Lfunc_end86-_ZN9rocsparseL22gebsrmvn_mxn_16_kernelILj60ELj15ELj1E21rocsparse_complex_numIfEEEvi20rocsparse_direction_NS_24const_host_device_scalarIT2_EEPKiS8_PKS5_iiSA_S6_PS5_21rocsparse_index_base_b
                                        ; -- End function
	.section	.AMDGPU.csdata,"",@progbits
; Kernel info:
; codeLenInByte = 1064
; NumSgprs: 18
; NumVgprs: 15
; ScratchSize: 0
; MemoryBound: 0
; FloatMode: 240
; IeeeMode: 1
; LDSByteSize: 480 bytes/workgroup (compile time only)
; SGPRBlocks: 2
; VGPRBlocks: 1
; NumSGPRsForWavesPerEU: 18
; NumVGPRsForWavesPerEU: 15
; Occupancy: 16
; WaveLimiterHint : 1
; COMPUTE_PGM_RSRC2:SCRATCH_EN: 0
; COMPUTE_PGM_RSRC2:USER_SGPR: 15
; COMPUTE_PGM_RSRC2:TRAP_HANDLER: 0
; COMPUTE_PGM_RSRC2:TGID_X_EN: 1
; COMPUTE_PGM_RSRC2:TGID_Y_EN: 0
; COMPUTE_PGM_RSRC2:TGID_Z_EN: 0
; COMPUTE_PGM_RSRC2:TIDIG_COMP_CNT: 0
	.section	.text._ZN9rocsparseL22gebsrmvn_mxn_16_kernelILj60ELj15ELj2E21rocsparse_complex_numIfEEEvi20rocsparse_direction_NS_24const_host_device_scalarIT2_EEPKiS8_PKS5_iiSA_S6_PS5_21rocsparse_index_base_b,"axG",@progbits,_ZN9rocsparseL22gebsrmvn_mxn_16_kernelILj60ELj15ELj2E21rocsparse_complex_numIfEEEvi20rocsparse_direction_NS_24const_host_device_scalarIT2_EEPKiS8_PKS5_iiSA_S6_PS5_21rocsparse_index_base_b,comdat
	.globl	_ZN9rocsparseL22gebsrmvn_mxn_16_kernelILj60ELj15ELj2E21rocsparse_complex_numIfEEEvi20rocsparse_direction_NS_24const_host_device_scalarIT2_EEPKiS8_PKS5_iiSA_S6_PS5_21rocsparse_index_base_b ; -- Begin function _ZN9rocsparseL22gebsrmvn_mxn_16_kernelILj60ELj15ELj2E21rocsparse_complex_numIfEEEvi20rocsparse_direction_NS_24const_host_device_scalarIT2_EEPKiS8_PKS5_iiSA_S6_PS5_21rocsparse_index_base_b
	.p2align	8
	.type	_ZN9rocsparseL22gebsrmvn_mxn_16_kernelILj60ELj15ELj2E21rocsparse_complex_numIfEEEvi20rocsparse_direction_NS_24const_host_device_scalarIT2_EEPKiS8_PKS5_iiSA_S6_PS5_21rocsparse_index_base_b,@function
_ZN9rocsparseL22gebsrmvn_mxn_16_kernelILj60ELj15ELj2E21rocsparse_complex_numIfEEEvi20rocsparse_direction_NS_24const_host_device_scalarIT2_EEPKiS8_PKS5_iiSA_S6_PS5_21rocsparse_index_base_b: ; @_ZN9rocsparseL22gebsrmvn_mxn_16_kernelILj60ELj15ELj2E21rocsparse_complex_numIfEEEvi20rocsparse_direction_NS_24const_host_device_scalarIT2_EEPKiS8_PKS5_iiSA_S6_PS5_21rocsparse_index_base_b
; %bb.0:
	s_clause 0x2
	s_load_b64 s[10:11], s[0:1], 0x48
	s_load_b64 s[4:5], s[0:1], 0x8
	;; [unrolled: 1-line block ×3, first 2 shown]
	s_mov_b32 s8, s15
	s_waitcnt lgkmcnt(0)
	s_bitcmp1_b32 s11, 0
	v_mov_b32_e32 v9, s4
	s_cselect_b32 s6, -1, 0
	s_delay_alu instid0(SALU_CYCLE_1)
	s_and_b32 vcc_lo, exec_lo, s6
	s_xor_b32 s6, s6, -1
	s_cbranch_vccz .LBB87_15
; %bb.1:
	v_cndmask_b32_e64 v1, 0, 1, s6
	v_mov_b32_e32 v10, s5
	s_and_not1_b32 vcc_lo, exec_lo, s6
	s_cbranch_vccz .LBB87_16
.LBB87_2:
	s_delay_alu instid0(VALU_DEP_2)
	v_cmp_ne_u32_e32 vcc_lo, 1, v1
	v_mov_b32_e32 v7, s2
	s_cbranch_vccz .LBB87_17
.LBB87_3:
	v_cmp_ne_u32_e32 vcc_lo, 1, v1
	v_mov_b32_e32 v8, s3
	s_cbranch_vccnz .LBB87_5
.LBB87_4:
	v_dual_mov_b32 v1, s2 :: v_dual_mov_b32 v2, s3
	flat_load_b32 v8, v[1:2] offset:4
.LBB87_5:
	s_waitcnt vmcnt(0) lgkmcnt(0)
	v_cmp_eq_f32_e32 vcc_lo, 0, v9
	v_cmp_eq_f32_e64 s2, 0, v10
	s_delay_alu instid0(VALU_DEP_1)
	s_and_b32 s4, vcc_lo, s2
	s_mov_b32 s2, -1
	s_and_saveexec_b32 s3, s4
; %bb.6:
	v_cmp_neq_f32_e32 vcc_lo, 1.0, v7
	v_cmp_neq_f32_e64 s2, 0, v8
	s_delay_alu instid0(VALU_DEP_1) | instskip(NEXT) | instid1(SALU_CYCLE_1)
	s_or_b32 s2, vcc_lo, s2
	s_or_not1_b32 s2, s2, exec_lo
; %bb.7:
	s_or_b32 exec_lo, exec_lo, s3
	s_and_saveexec_b32 s3, s2
	s_cbranch_execz .LBB87_37
; %bb.8:
	s_clause 0x1
	s_load_b32 s4, s[0:1], 0x4
	s_load_b64 s[2:3], s[0:1], 0x10
	v_and_b32_e32 v11, 1, v0
	s_delay_alu instid0(VALU_DEP_1) | instskip(SKIP_3) | instid1(SALU_CYCLE_1)
	v_mov_b32_e32 v12, v11
	s_waitcnt lgkmcnt(0)
	s_cmp_lg_u32 s4, 1
	s_cselect_b32 s11, -1, 0
	s_and_b32 vcc_lo, exec_lo, s11
	s_cbranch_vccnz .LBB87_10
; %bb.9:
	v_mul_u32_u24_e32 v1, 0x1112, v0
	s_delay_alu instid0(VALU_DEP_1)
	v_bfe_u32 v12, v1, 16, 1
.LBB87_10:
	s_ashr_i32 s9, s8, 31
	v_dual_mov_b32 v2, 0 :: v_dual_mov_b32 v1, 0
	s_lshl_b64 s[4:5], s[8:9], 2
	s_delay_alu instid0(SALU_CYCLE_1)
	s_add_u32 s2, s2, s4
	s_addc_u32 s3, s3, s5
	s_load_b64 s[12:13], s[2:3], 0x0
	s_load_b64 s[2:3], s[0:1], 0x40
	s_waitcnt lgkmcnt(0)
	s_cmp_ge_i32 s12, s13
	s_cbranch_scc1 .LBB87_18
; %bb.11:
	s_clause 0x1
	s_load_b128 s[4:7], s[0:1], 0x18
	s_load_b64 s[0:1], s[0:1], 0x30
	v_mad_u64_u32 v[1:2], null, s12, 30, v[0:1]
	v_mul_u32_u24_e32 v3, 0x889, v0
	v_mov_b32_e32 v2, 0
	s_mul_i32 s9, s10, 30
	v_mov_b32_e32 v4, 0
	s_sub_i32 s12, s12, s10
	v_lshrrev_b32_e32 v13, 16, v3
	v_subrev_nc_u32_e32 v3, s9, v1
	v_mov_b32_e32 v1, v2
	s_sub_i32 s9, s13, s10
	s_set_inst_prefetch_distance 0x1
	s_branch .LBB87_13
	.p2align	6
.LBB87_12:                              ;   in Loop: Header=BB87_13 Depth=1
	s_or_b32 exec_lo, exec_lo, s13
	v_add_nc_u32_e32 v3, 60, v3
	s_add_i32 s12, s12, 2
	s_delay_alu instid0(SALU_CYCLE_1)
	s_cmp_ge_i32 s12, s9
	s_cbranch_scc1 .LBB87_18
.LBB87_13:                              ; =>This Inner Loop Header: Depth=1
	v_add_nc_u32_e32 v5, s12, v13
	s_mov_b32 s13, exec_lo
	s_delay_alu instid0(VALU_DEP_1)
	v_cmpx_gt_i32_e64 s9, v5
	s_cbranch_execz .LBB87_12
; %bb.14:                               ;   in Loop: Header=BB87_13 Depth=1
	v_ashrrev_i32_e32 v6, 31, v5
	v_lshlrev_b64 v[14:15], 3, v[3:4]
	s_delay_alu instid0(VALU_DEP_2) | instskip(SKIP_1) | instid1(VALU_DEP_1)
	v_lshlrev_b64 v[5:6], 2, v[5:6]
	s_waitcnt lgkmcnt(0)
	v_add_co_u32 v5, vcc_lo, s4, v5
	s_delay_alu instid0(VALU_DEP_2) | instskip(NEXT) | instid1(VALU_DEP_4)
	v_add_co_ci_u32_e32 v6, vcc_lo, s5, v6, vcc_lo
	v_add_co_u32 v14, vcc_lo, s6, v14
	v_add_co_ci_u32_e32 v15, vcc_lo, s7, v15, vcc_lo
	global_load_b32 v5, v[5:6], off
	s_waitcnt vmcnt(0)
	v_subrev_nc_u32_e32 v5, s10, v5
	s_delay_alu instid0(VALU_DEP_1) | instskip(NEXT) | instid1(VALU_DEP_1)
	v_lshl_or_b32 v5, v5, 1, v12
	v_ashrrev_i32_e32 v6, 31, v5
	s_delay_alu instid0(VALU_DEP_1) | instskip(NEXT) | instid1(VALU_DEP_1)
	v_lshlrev_b64 v[5:6], 3, v[5:6]
	v_add_co_u32 v5, vcc_lo, s0, v5
	s_delay_alu instid0(VALU_DEP_2)
	v_add_co_ci_u32_e32 v6, vcc_lo, s1, v6, vcc_lo
	global_load_b64 v[14:15], v[14:15], off
	global_load_b64 v[5:6], v[5:6], off
	s_waitcnt vmcnt(0)
	v_fmac_f32_e32 v1, v14, v5
	v_fmac_f32_e32 v2, v15, v5
	s_delay_alu instid0(VALU_DEP_2) | instskip(NEXT) | instid1(VALU_DEP_2)
	v_fma_f32 v1, -v15, v6, v1
	v_fmac_f32_e32 v2, v14, v6
	s_branch .LBB87_12
.LBB87_15:
	v_dual_mov_b32 v1, s4 :: v_dual_mov_b32 v2, s5
	flat_load_b32 v9, v[1:2]
	v_cndmask_b32_e64 v1, 0, 1, s6
	v_mov_b32_e32 v10, s5
	s_and_not1_b32 vcc_lo, exec_lo, s6
	s_cbranch_vccnz .LBB87_2
.LBB87_16:
	v_dual_mov_b32 v2, s4 :: v_dual_mov_b32 v3, s5
	flat_load_b32 v10, v[2:3] offset:4
	v_cmp_ne_u32_e32 vcc_lo, 1, v1
	v_mov_b32_e32 v7, s2
	s_cbranch_vccnz .LBB87_3
.LBB87_17:
	v_dual_mov_b32 v2, s2 :: v_dual_mov_b32 v3, s3
	flat_load_b32 v7, v[2:3]
	v_cmp_ne_u32_e32 vcc_lo, 1, v1
	v_mov_b32_e32 v8, s3
	s_cbranch_vccz .LBB87_4
	s_branch .LBB87_5
.LBB87_18:
	s_set_inst_prefetch_distance 0x2
	v_lshlrev_b32_e32 v5, 3, v0
	s_waitcnt lgkmcnt(0)
	s_mov_b32 s0, exec_lo
	ds_store_b64 v5, v[1:2]
	s_waitcnt lgkmcnt(0)
	s_barrier
	buffer_gl0_inv
	v_cmpx_gt_u32_e32 30, v0
	s_cbranch_execz .LBB87_20
; %bb.19:
	ds_load_2addr_b64 v[12:15], v5 offset1:30
	s_waitcnt lgkmcnt(0)
	v_dual_add_f32 v3, v14, v12 :: v_dual_add_f32 v4, v15, v13
	ds_store_b64 v5, v[3:4]
.LBB87_20:
	s_or_b32 exec_lo, exec_lo, s0
	s_delay_alu instid0(SALU_CYCLE_1)
	s_and_b32 vcc_lo, exec_lo, s11
	s_waitcnt lgkmcnt(0)
	s_barrier
	buffer_gl0_inv
	s_cbranch_vccz .LBB87_26
; %bb.21:
	s_mov_b32 s0, exec_lo
	v_cmpx_eq_u32_e32 0, v11
	s_cbranch_execz .LBB87_23
; %bb.22:
	ds_load_2addr_b64 v[11:14], v5 offset1:1
	s_waitcnt lgkmcnt(0)
	v_dual_add_f32 v3, v13, v11 :: v_dual_add_f32 v4, v14, v12
	ds_store_b64 v5, v[3:4]
.LBB87_23:
	s_or_b32 exec_lo, exec_lo, s0
	v_dual_mov_b32 v4, v2 :: v_dual_mov_b32 v3, v1
	s_mov_b32 s0, exec_lo
	s_waitcnt lgkmcnt(0)
	s_barrier
	buffer_gl0_inv
	v_cmpx_gt_u32_e32 15, v0
	s_cbranch_execz .LBB87_25
; %bb.24:
	v_lshl_add_u32 v3, v0, 3, v5
	ds_load_b64 v[3:4], v3
.LBB87_25:
	s_or_b32 exec_lo, exec_lo, s0
	s_branch .LBB87_32
.LBB87_26:
                                        ; implicit-def: $vgpr4
	s_cbranch_execz .LBB87_32
; %bb.27:
	s_mov_b32 s0, exec_lo
	v_cmpx_lt_u32_e32 14, v0
	s_xor_b32 s0, exec_lo, s0
	s_cbranch_execz .LBB87_29
; %bb.28:
	s_waitcnt lgkmcnt(0)
	buffer_gl0_inv
                                        ; implicit-def: $vgpr5
.LBB87_29:
	s_and_not1_saveexec_b32 s0, s0
	s_cbranch_execz .LBB87_31
; %bb.30:
	s_waitcnt lgkmcnt(0)
	ds_load_2addr_b64 v[1:4], v5 offset1:15
	s_waitcnt lgkmcnt(0)
	v_dual_add_f32 v1, v3, v1 :: v_dual_add_f32 v2, v4, v2
	ds_store_b64 v5, v[1:2]
	s_waitcnt lgkmcnt(0)
	buffer_gl0_inv
	ds_load_b64 v[1:2], v5
.LBB87_31:
	s_or_b32 exec_lo, exec_lo, s0
	s_waitcnt lgkmcnt(0)
	v_dual_mov_b32 v3, v1 :: v_dual_mov_b32 v4, v2
.LBB87_32:
	v_cmp_gt_u32_e32 vcc_lo, 15, v0
	s_and_b32 exec_lo, exec_lo, vcc_lo
	s_cbranch_execz .LBB87_37
; %bb.33:
	s_waitcnt lgkmcnt(0)
	v_mul_f32_e64 v1, v4, -v10
	v_mul_f32_e32 v2, v4, v9
	v_cmp_eq_f32_e32 vcc_lo, 0, v7
	v_cmp_eq_f32_e64 s0, 0, v8
	s_delay_alu instid0(VALU_DEP_4) | instskip(NEXT) | instid1(VALU_DEP_4)
	v_fmac_f32_e32 v1, v9, v3
	v_fmac_f32_e32 v2, v10, v3
	s_delay_alu instid0(VALU_DEP_3) | instskip(NEXT) | instid1(SALU_CYCLE_1)
	s_and_b32 s0, vcc_lo, s0
	s_and_saveexec_b32 s1, s0
	s_delay_alu instid0(SALU_CYCLE_1)
	s_xor_b32 s0, exec_lo, s1
	s_cbranch_execz .LBB87_35
; %bb.34:
	v_mad_u64_u32 v[3:4], null, s8, 15, v[0:1]
	v_mov_b32_e32 v4, 0
                                        ; implicit-def: $vgpr0
                                        ; implicit-def: $vgpr7
                                        ; implicit-def: $vgpr8
	s_delay_alu instid0(VALU_DEP_1) | instskip(NEXT) | instid1(VALU_DEP_1)
	v_lshlrev_b64 v[3:4], 3, v[3:4]
	v_add_co_u32 v3, vcc_lo, s2, v3
	s_delay_alu instid0(VALU_DEP_2)
	v_add_co_ci_u32_e32 v4, vcc_lo, s3, v4, vcc_lo
	global_store_b64 v[3:4], v[1:2], off
                                        ; implicit-def: $vgpr1
.LBB87_35:
	s_and_not1_saveexec_b32 s0, s0
	s_cbranch_execz .LBB87_37
; %bb.36:
	v_mad_u64_u32 v[3:4], null, s8, 15, v[0:1]
	v_mov_b32_e32 v4, 0
	s_delay_alu instid0(VALU_DEP_1) | instskip(NEXT) | instid1(VALU_DEP_1)
	v_lshlrev_b64 v[3:4], 3, v[3:4]
	v_add_co_u32 v3, vcc_lo, s2, v3
	s_delay_alu instid0(VALU_DEP_2) | instskip(SKIP_4) | instid1(VALU_DEP_2)
	v_add_co_ci_u32_e32 v4, vcc_lo, s3, v4, vcc_lo
	global_load_b64 v[5:6], v[3:4], off
	s_waitcnt vmcnt(0)
	v_fmac_f32_e32 v1, v7, v5
	v_fmac_f32_e32 v2, v8, v5
	v_fma_f32 v1, -v8, v6, v1
	s_delay_alu instid0(VALU_DEP_2)
	v_fmac_f32_e32 v2, v7, v6
	global_store_b64 v[3:4], v[1:2], off
.LBB87_37:
	s_nop 0
	s_sendmsg sendmsg(MSG_DEALLOC_VGPRS)
	s_endpgm
	.section	.rodata,"a",@progbits
	.p2align	6, 0x0
	.amdhsa_kernel _ZN9rocsparseL22gebsrmvn_mxn_16_kernelILj60ELj15ELj2E21rocsparse_complex_numIfEEEvi20rocsparse_direction_NS_24const_host_device_scalarIT2_EEPKiS8_PKS5_iiSA_S6_PS5_21rocsparse_index_base_b
		.amdhsa_group_segment_fixed_size 480
		.amdhsa_private_segment_fixed_size 0
		.amdhsa_kernarg_size 80
		.amdhsa_user_sgpr_count 15
		.amdhsa_user_sgpr_dispatch_ptr 0
		.amdhsa_user_sgpr_queue_ptr 0
		.amdhsa_user_sgpr_kernarg_segment_ptr 1
		.amdhsa_user_sgpr_dispatch_id 0
		.amdhsa_user_sgpr_private_segment_size 0
		.amdhsa_wavefront_size32 1
		.amdhsa_uses_dynamic_stack 0
		.amdhsa_enable_private_segment 0
		.amdhsa_system_sgpr_workgroup_id_x 1
		.amdhsa_system_sgpr_workgroup_id_y 0
		.amdhsa_system_sgpr_workgroup_id_z 0
		.amdhsa_system_sgpr_workgroup_info 0
		.amdhsa_system_vgpr_workitem_id 0
		.amdhsa_next_free_vgpr 16
		.amdhsa_next_free_sgpr 16
		.amdhsa_reserve_vcc 1
		.amdhsa_float_round_mode_32 0
		.amdhsa_float_round_mode_16_64 0
		.amdhsa_float_denorm_mode_32 3
		.amdhsa_float_denorm_mode_16_64 3
		.amdhsa_dx10_clamp 1
		.amdhsa_ieee_mode 1
		.amdhsa_fp16_overflow 0
		.amdhsa_workgroup_processor_mode 1
		.amdhsa_memory_ordered 1
		.amdhsa_forward_progress 0
		.amdhsa_shared_vgpr_count 0
		.amdhsa_exception_fp_ieee_invalid_op 0
		.amdhsa_exception_fp_denorm_src 0
		.amdhsa_exception_fp_ieee_div_zero 0
		.amdhsa_exception_fp_ieee_overflow 0
		.amdhsa_exception_fp_ieee_underflow 0
		.amdhsa_exception_fp_ieee_inexact 0
		.amdhsa_exception_int_div_zero 0
	.end_amdhsa_kernel
	.section	.text._ZN9rocsparseL22gebsrmvn_mxn_16_kernelILj60ELj15ELj2E21rocsparse_complex_numIfEEEvi20rocsparse_direction_NS_24const_host_device_scalarIT2_EEPKiS8_PKS5_iiSA_S6_PS5_21rocsparse_index_base_b,"axG",@progbits,_ZN9rocsparseL22gebsrmvn_mxn_16_kernelILj60ELj15ELj2E21rocsparse_complex_numIfEEEvi20rocsparse_direction_NS_24const_host_device_scalarIT2_EEPKiS8_PKS5_iiSA_S6_PS5_21rocsparse_index_base_b,comdat
.Lfunc_end87:
	.size	_ZN9rocsparseL22gebsrmvn_mxn_16_kernelILj60ELj15ELj2E21rocsparse_complex_numIfEEEvi20rocsparse_direction_NS_24const_host_device_scalarIT2_EEPKiS8_PKS5_iiSA_S6_PS5_21rocsparse_index_base_b, .Lfunc_end87-_ZN9rocsparseL22gebsrmvn_mxn_16_kernelILj60ELj15ELj2E21rocsparse_complex_numIfEEEvi20rocsparse_direction_NS_24const_host_device_scalarIT2_EEPKiS8_PKS5_iiSA_S6_PS5_21rocsparse_index_base_b
                                        ; -- End function
	.section	.AMDGPU.csdata,"",@progbits
; Kernel info:
; codeLenInByte = 1256
; NumSgprs: 18
; NumVgprs: 16
; ScratchSize: 0
; MemoryBound: 0
; FloatMode: 240
; IeeeMode: 1
; LDSByteSize: 480 bytes/workgroup (compile time only)
; SGPRBlocks: 2
; VGPRBlocks: 1
; NumSGPRsForWavesPerEU: 18
; NumVGPRsForWavesPerEU: 16
; Occupancy: 16
; WaveLimiterHint : 1
; COMPUTE_PGM_RSRC2:SCRATCH_EN: 0
; COMPUTE_PGM_RSRC2:USER_SGPR: 15
; COMPUTE_PGM_RSRC2:TRAP_HANDLER: 0
; COMPUTE_PGM_RSRC2:TGID_X_EN: 1
; COMPUTE_PGM_RSRC2:TGID_Y_EN: 0
; COMPUTE_PGM_RSRC2:TGID_Z_EN: 0
; COMPUTE_PGM_RSRC2:TIDIG_COMP_CNT: 0
	.section	.text._ZN9rocsparseL22gebsrmvn_mxn_16_kernelILj45ELj15ELj3E21rocsparse_complex_numIfEEEvi20rocsparse_direction_NS_24const_host_device_scalarIT2_EEPKiS8_PKS5_iiSA_S6_PS5_21rocsparse_index_base_b,"axG",@progbits,_ZN9rocsparseL22gebsrmvn_mxn_16_kernelILj45ELj15ELj3E21rocsparse_complex_numIfEEEvi20rocsparse_direction_NS_24const_host_device_scalarIT2_EEPKiS8_PKS5_iiSA_S6_PS5_21rocsparse_index_base_b,comdat
	.globl	_ZN9rocsparseL22gebsrmvn_mxn_16_kernelILj45ELj15ELj3E21rocsparse_complex_numIfEEEvi20rocsparse_direction_NS_24const_host_device_scalarIT2_EEPKiS8_PKS5_iiSA_S6_PS5_21rocsparse_index_base_b ; -- Begin function _ZN9rocsparseL22gebsrmvn_mxn_16_kernelILj45ELj15ELj3E21rocsparse_complex_numIfEEEvi20rocsparse_direction_NS_24const_host_device_scalarIT2_EEPKiS8_PKS5_iiSA_S6_PS5_21rocsparse_index_base_b
	.p2align	8
	.type	_ZN9rocsparseL22gebsrmvn_mxn_16_kernelILj45ELj15ELj3E21rocsparse_complex_numIfEEEvi20rocsparse_direction_NS_24const_host_device_scalarIT2_EEPKiS8_PKS5_iiSA_S6_PS5_21rocsparse_index_base_b,@function
_ZN9rocsparseL22gebsrmvn_mxn_16_kernelILj45ELj15ELj3E21rocsparse_complex_numIfEEEvi20rocsparse_direction_NS_24const_host_device_scalarIT2_EEPKiS8_PKS5_iiSA_S6_PS5_21rocsparse_index_base_b: ; @_ZN9rocsparseL22gebsrmvn_mxn_16_kernelILj45ELj15ELj3E21rocsparse_complex_numIfEEEvi20rocsparse_direction_NS_24const_host_device_scalarIT2_EEPKiS8_PKS5_iiSA_S6_PS5_21rocsparse_index_base_b
; %bb.0:
	s_clause 0x2
	s_load_b64 s[10:11], s[0:1], 0x48
	s_load_b64 s[4:5], s[0:1], 0x8
	;; [unrolled: 1-line block ×3, first 2 shown]
	s_mov_b32 s8, s15
	s_waitcnt lgkmcnt(0)
	s_bitcmp1_b32 s11, 0
	v_mov_b32_e32 v10, s4
	s_cselect_b32 s6, -1, 0
	s_delay_alu instid0(SALU_CYCLE_1)
	s_and_b32 vcc_lo, exec_lo, s6
	s_xor_b32 s6, s6, -1
	s_cbranch_vccz .LBB88_15
; %bb.1:
	v_cndmask_b32_e64 v1, 0, 1, s6
	v_mov_b32_e32 v11, s5
	s_and_not1_b32 vcc_lo, exec_lo, s6
	s_cbranch_vccz .LBB88_16
.LBB88_2:
	s_delay_alu instid0(VALU_DEP_2)
	v_cmp_ne_u32_e32 vcc_lo, 1, v1
	v_mov_b32_e32 v8, s2
	s_cbranch_vccz .LBB88_17
.LBB88_3:
	v_cmp_ne_u32_e32 vcc_lo, 1, v1
	v_mov_b32_e32 v9, s3
	s_cbranch_vccnz .LBB88_5
.LBB88_4:
	v_dual_mov_b32 v1, s2 :: v_dual_mov_b32 v2, s3
	flat_load_b32 v9, v[1:2] offset:4
.LBB88_5:
	s_waitcnt vmcnt(0) lgkmcnt(0)
	v_cmp_eq_f32_e32 vcc_lo, 0, v10
	v_cmp_eq_f32_e64 s2, 0, v11
	s_delay_alu instid0(VALU_DEP_1)
	s_and_b32 s4, vcc_lo, s2
	s_mov_b32 s2, -1
	s_and_saveexec_b32 s3, s4
; %bb.6:
	v_cmp_neq_f32_e32 vcc_lo, 1.0, v8
	v_cmp_neq_f32_e64 s2, 0, v9
	s_delay_alu instid0(VALU_DEP_1) | instskip(NEXT) | instid1(SALU_CYCLE_1)
	s_or_b32 s2, vcc_lo, s2
	s_or_not1_b32 s2, s2, exec_lo
; %bb.7:
	s_or_b32 exec_lo, exec_lo, s3
	s_and_saveexec_b32 s3, s2
	s_cbranch_execz .LBB88_39
; %bb.8:
	v_mul_u32_u24_e32 v1, 0x5556, v0
	s_clause 0x1
	s_load_b32 s4, s[0:1], 0x4
	s_load_b64 s[2:3], s[0:1], 0x10
	s_delay_alu instid0(VALU_DEP_1) | instskip(NEXT) | instid1(VALU_DEP_1)
	v_lshrrev_b32_e32 v1, 16, v1
	v_mul_lo_u16 v1, v1, 3
	s_delay_alu instid0(VALU_DEP_1) | instskip(NEXT) | instid1(VALU_DEP_1)
	v_sub_nc_u16 v1, v0, v1
	v_and_b32_e32 v12, 0xffff, v1
	s_waitcnt lgkmcnt(0)
	s_cmp_lg_u32 s4, 1
	v_and_b32_e32 v4, 0xffff, v0
	s_cselect_b32 s11, -1, 0
	v_mov_b32_e32 v3, v12
	s_and_b32 vcc_lo, exec_lo, s11
	s_cbranch_vccnz .LBB88_10
; %bb.9:
	v_mul_u32_u24_e32 v1, 0x1112, v4
	s_delay_alu instid0(VALU_DEP_1) | instskip(NEXT) | instid1(VALU_DEP_1)
	v_lshrrev_b32_e32 v1, 16, v1
	v_mul_lo_u16 v2, 0x56, v1
	s_delay_alu instid0(VALU_DEP_1) | instskip(NEXT) | instid1(VALU_DEP_1)
	v_lshrrev_b16 v2, 8, v2
	v_mul_lo_u16 v2, v2, 3
	s_delay_alu instid0(VALU_DEP_1) | instskip(NEXT) | instid1(VALU_DEP_1)
	v_sub_nc_u16 v1, v1, v2
	v_and_b32_e32 v3, 0xff, v1
.LBB88_10:
	s_ashr_i32 s9, s8, 31
	v_dual_mov_b32 v2, 0 :: v_dual_mov_b32 v1, 0
	s_lshl_b64 s[4:5], s[8:9], 2
	s_delay_alu instid0(SALU_CYCLE_1)
	s_add_u32 s2, s2, s4
	s_addc_u32 s3, s3, s5
	s_load_b64 s[12:13], s[2:3], 0x0
	s_load_b64 s[2:3], s[0:1], 0x40
	s_waitcnt lgkmcnt(0)
	s_cmp_ge_i32 s12, s13
	s_cbranch_scc1 .LBB88_18
; %bb.11:
	s_clause 0x1
	s_load_b128 s[4:7], s[0:1], 0x18
	s_load_b64 s[0:1], s[0:1], 0x30
	v_mad_u64_u32 v[1:2], null, s12, 45, v[0:1]
	v_mul_u32_u24_e32 v4, 0x5b1, v4
	v_dual_mov_b32 v2, 0 :: v_dual_mov_b32 v5, 0
	s_mul_i32 s9, s10, 45
	s_sub_i32 s12, s12, s10
	s_delay_alu instid0(VALU_DEP_2) | instskip(NEXT) | instid1(VALU_DEP_4)
	v_lshrrev_b32_e32 v13, 16, v4
	v_subrev_nc_u32_e32 v4, s9, v1
	v_mov_b32_e32 v1, v2
	s_sub_i32 s9, s13, s10
	s_set_inst_prefetch_distance 0x1
	s_branch .LBB88_13
	.p2align	6
.LBB88_12:                              ;   in Loop: Header=BB88_13 Depth=1
	s_or_b32 exec_lo, exec_lo, s13
	v_add_nc_u32_e32 v4, 45, v4
	s_add_i32 s12, s12, 1
	s_delay_alu instid0(SALU_CYCLE_1)
	s_cmp_ge_i32 s12, s9
	s_cbranch_scc1 .LBB88_18
.LBB88_13:                              ; =>This Inner Loop Header: Depth=1
	v_add_nc_u32_e32 v6, s12, v13
	s_mov_b32 s13, exec_lo
	s_delay_alu instid0(VALU_DEP_1)
	v_cmpx_gt_i32_e64 s9, v6
	s_cbranch_execz .LBB88_12
; %bb.14:                               ;   in Loop: Header=BB88_13 Depth=1
	v_ashrrev_i32_e32 v7, 31, v6
	s_delay_alu instid0(VALU_DEP_1) | instskip(SKIP_1) | instid1(VALU_DEP_1)
	v_lshlrev_b64 v[6:7], 2, v[6:7]
	s_waitcnt lgkmcnt(0)
	v_add_co_u32 v6, vcc_lo, s4, v6
	s_delay_alu instid0(VALU_DEP_2) | instskip(SKIP_3) | instid1(VALU_DEP_1)
	v_add_co_ci_u32_e32 v7, vcc_lo, s5, v7, vcc_lo
	global_load_b32 v6, v[6:7], off
	s_waitcnt vmcnt(0)
	v_subrev_nc_u32_e32 v14, s10, v6
	v_mad_u64_u32 v[6:7], null, v14, 3, v[3:4]
	v_lshlrev_b64 v[14:15], 3, v[4:5]
	s_delay_alu instid0(VALU_DEP_1) | instskip(NEXT) | instid1(VALU_DEP_3)
	v_add_co_u32 v14, vcc_lo, s6, v14
	v_ashrrev_i32_e32 v7, 31, v6
	s_delay_alu instid0(VALU_DEP_3) | instskip(NEXT) | instid1(VALU_DEP_2)
	v_add_co_ci_u32_e32 v15, vcc_lo, s7, v15, vcc_lo
	v_lshlrev_b64 v[6:7], 3, v[6:7]
	s_delay_alu instid0(VALU_DEP_1) | instskip(NEXT) | instid1(VALU_DEP_2)
	v_add_co_u32 v6, vcc_lo, s0, v6
	v_add_co_ci_u32_e32 v7, vcc_lo, s1, v7, vcc_lo
	global_load_b64 v[14:15], v[14:15], off
	global_load_b64 v[6:7], v[6:7], off
	s_waitcnt vmcnt(0)
	v_fmac_f32_e32 v1, v14, v6
	v_fmac_f32_e32 v2, v15, v6
	s_delay_alu instid0(VALU_DEP_2) | instskip(NEXT) | instid1(VALU_DEP_2)
	v_fma_f32 v1, -v15, v7, v1
	v_fmac_f32_e32 v2, v14, v7
	s_branch .LBB88_12
.LBB88_15:
	v_dual_mov_b32 v1, s4 :: v_dual_mov_b32 v2, s5
	flat_load_b32 v10, v[1:2]
	v_cndmask_b32_e64 v1, 0, 1, s6
	v_mov_b32_e32 v11, s5
	s_and_not1_b32 vcc_lo, exec_lo, s6
	s_cbranch_vccnz .LBB88_2
.LBB88_16:
	v_dual_mov_b32 v2, s4 :: v_dual_mov_b32 v3, s5
	flat_load_b32 v11, v[2:3] offset:4
	v_cmp_ne_u32_e32 vcc_lo, 1, v1
	v_mov_b32_e32 v8, s2
	s_cbranch_vccnz .LBB88_3
.LBB88_17:
	v_dual_mov_b32 v2, s2 :: v_dual_mov_b32 v3, s3
	flat_load_b32 v8, v[2:3]
	v_cmp_ne_u32_e32 vcc_lo, 1, v1
	v_mov_b32_e32 v9, s3
	s_cbranch_vccz .LBB88_4
	s_branch .LBB88_5
.LBB88_18:
	s_set_inst_prefetch_distance 0x2
	v_lshlrev_b32_e32 v5, 3, v0
	s_and_b32 vcc_lo, exec_lo, s11
	ds_store_b64 v5, v[1:2]
	s_waitcnt lgkmcnt(0)
	s_barrier
	buffer_gl0_inv
	s_cbranch_vccz .LBB88_26
; %bb.19:
	v_cmp_eq_u16_e32 vcc_lo, 0, v12
	s_and_saveexec_b32 s0, vcc_lo
	s_cbranch_execz .LBB88_21
; %bb.20:
	ds_load_2addr_b64 v[12:15], v5 offset1:2
	s_waitcnt lgkmcnt(0)
	v_dual_add_f32 v3, v14, v12 :: v_dual_add_f32 v4, v15, v13
	ds_store_b64 v5, v[3:4]
.LBB88_21:
	s_or_b32 exec_lo, exec_lo, s0
	s_waitcnt lgkmcnt(0)
	s_barrier
	buffer_gl0_inv
	s_and_saveexec_b32 s0, vcc_lo
	s_cbranch_execz .LBB88_23
; %bb.22:
	ds_load_2addr_b64 v[12:15], v5 offset1:1
	s_waitcnt lgkmcnt(0)
	v_dual_add_f32 v3, v14, v12 :: v_dual_add_f32 v4, v15, v13
	ds_store_b64 v5, v[3:4]
.LBB88_23:
	s_or_b32 exec_lo, exec_lo, s0
	v_dual_mov_b32 v4, v2 :: v_dual_mov_b32 v3, v1
	s_mov_b32 s0, exec_lo
	s_waitcnt lgkmcnt(0)
	s_barrier
	buffer_gl0_inv
	v_cmpx_gt_u32_e32 15, v0
	s_cbranch_execz .LBB88_25
; %bb.24:
	v_lshl_add_u32 v3, v0, 4, v5
	ds_load_b64 v[3:4], v3
.LBB88_25:
	s_or_b32 exec_lo, exec_lo, s0
	v_cmp_gt_u32_e64 s0, 15, v0
	s_branch .LBB88_34
.LBB88_26:
                                        ; implicit-def: $vgpr4
	v_cmp_gt_u32_e64 s0, 15, v0
	s_cbranch_execz .LBB88_34
; %bb.27:
	v_cmp_lt_u32_e32 vcc_lo, 14, v0
	s_delay_alu instid0(VALU_DEP_2)
	s_and_saveexec_b32 s1, s0
	s_cbranch_execz .LBB88_29
; %bb.28:
	ds_load_2addr_b64 v[12:15], v5 offset1:30
	s_waitcnt lgkmcnt(0)
	v_dual_add_f32 v3, v14, v12 :: v_dual_add_f32 v4, v15, v13
	ds_store_b64 v5, v[3:4]
.LBB88_29:
	s_or_b32 exec_lo, exec_lo, s1
	s_waitcnt lgkmcnt(0)
	s_barrier
	buffer_gl0_inv
	s_and_saveexec_b32 s0, vcc_lo
	s_delay_alu instid0(SALU_CYCLE_1)
	s_xor_b32 s0, exec_lo, s0
	s_cbranch_execz .LBB88_31
; %bb.30:
	buffer_gl0_inv
                                        ; implicit-def: $vgpr5
.LBB88_31:
	s_and_not1_saveexec_b32 s0, s0
	s_cbranch_execz .LBB88_33
; %bb.32:
	ds_load_2addr_b64 v[1:4], v5 offset1:15
	s_waitcnt lgkmcnt(0)
	v_dual_add_f32 v1, v3, v1 :: v_dual_add_f32 v2, v4, v2
	ds_store_b64 v5, v[1:2]
	s_waitcnt lgkmcnt(0)
	buffer_gl0_inv
	ds_load_b64 v[1:2], v5
.LBB88_33:
	s_or_b32 exec_lo, exec_lo, s0
	s_waitcnt lgkmcnt(0)
	v_dual_mov_b32 v4, v2 :: v_dual_mov_b32 v3, v1
.LBB88_34:
	v_cmp_gt_u32_e32 vcc_lo, 15, v0
	s_and_b32 exec_lo, exec_lo, vcc_lo
	s_cbranch_execz .LBB88_39
; %bb.35:
	s_waitcnt lgkmcnt(0)
	v_mul_f32_e64 v1, v4, -v11
	v_mul_f32_e32 v2, v4, v10
	v_cmp_eq_f32_e32 vcc_lo, 0, v8
	v_cmp_eq_f32_e64 s0, 0, v9
	s_delay_alu instid0(VALU_DEP_4) | instskip(NEXT) | instid1(VALU_DEP_4)
	v_fmac_f32_e32 v1, v10, v3
	v_fmac_f32_e32 v2, v11, v3
	s_delay_alu instid0(VALU_DEP_3) | instskip(NEXT) | instid1(SALU_CYCLE_1)
	s_and_b32 s0, vcc_lo, s0
	s_and_saveexec_b32 s1, s0
	s_delay_alu instid0(SALU_CYCLE_1)
	s_xor_b32 s0, exec_lo, s1
	s_cbranch_execz .LBB88_37
; %bb.36:
	v_mad_u64_u32 v[3:4], null, s8, 15, v[0:1]
	v_mov_b32_e32 v4, 0
                                        ; implicit-def: $vgpr0
                                        ; implicit-def: $vgpr8
                                        ; implicit-def: $vgpr9
	s_delay_alu instid0(VALU_DEP_1) | instskip(NEXT) | instid1(VALU_DEP_1)
	v_lshlrev_b64 v[3:4], 3, v[3:4]
	v_add_co_u32 v3, vcc_lo, s2, v3
	s_delay_alu instid0(VALU_DEP_2)
	v_add_co_ci_u32_e32 v4, vcc_lo, s3, v4, vcc_lo
	global_store_b64 v[3:4], v[1:2], off
                                        ; implicit-def: $vgpr1
.LBB88_37:
	s_and_not1_saveexec_b32 s0, s0
	s_cbranch_execz .LBB88_39
; %bb.38:
	v_mad_u64_u32 v[3:4], null, s8, 15, v[0:1]
	v_mov_b32_e32 v4, 0
	s_delay_alu instid0(VALU_DEP_1) | instskip(NEXT) | instid1(VALU_DEP_1)
	v_lshlrev_b64 v[3:4], 3, v[3:4]
	v_add_co_u32 v3, vcc_lo, s2, v3
	s_delay_alu instid0(VALU_DEP_2) | instskip(SKIP_4) | instid1(VALU_DEP_2)
	v_add_co_ci_u32_e32 v4, vcc_lo, s3, v4, vcc_lo
	global_load_b64 v[5:6], v[3:4], off
	s_waitcnt vmcnt(0)
	v_fmac_f32_e32 v1, v8, v5
	v_fmac_f32_e32 v2, v9, v5
	v_fma_f32 v1, -v9, v6, v1
	s_delay_alu instid0(VALU_DEP_2)
	v_fmac_f32_e32 v2, v8, v6
	global_store_b64 v[3:4], v[1:2], off
.LBB88_39:
	s_nop 0
	s_sendmsg sendmsg(MSG_DEALLOC_VGPRS)
	s_endpgm
	.section	.rodata,"a",@progbits
	.p2align	6, 0x0
	.amdhsa_kernel _ZN9rocsparseL22gebsrmvn_mxn_16_kernelILj45ELj15ELj3E21rocsparse_complex_numIfEEEvi20rocsparse_direction_NS_24const_host_device_scalarIT2_EEPKiS8_PKS5_iiSA_S6_PS5_21rocsparse_index_base_b
		.amdhsa_group_segment_fixed_size 360
		.amdhsa_private_segment_fixed_size 0
		.amdhsa_kernarg_size 80
		.amdhsa_user_sgpr_count 15
		.amdhsa_user_sgpr_dispatch_ptr 0
		.amdhsa_user_sgpr_queue_ptr 0
		.amdhsa_user_sgpr_kernarg_segment_ptr 1
		.amdhsa_user_sgpr_dispatch_id 0
		.amdhsa_user_sgpr_private_segment_size 0
		.amdhsa_wavefront_size32 1
		.amdhsa_uses_dynamic_stack 0
		.amdhsa_enable_private_segment 0
		.amdhsa_system_sgpr_workgroup_id_x 1
		.amdhsa_system_sgpr_workgroup_id_y 0
		.amdhsa_system_sgpr_workgroup_id_z 0
		.amdhsa_system_sgpr_workgroup_info 0
		.amdhsa_system_vgpr_workitem_id 0
		.amdhsa_next_free_vgpr 16
		.amdhsa_next_free_sgpr 16
		.amdhsa_reserve_vcc 1
		.amdhsa_float_round_mode_32 0
		.amdhsa_float_round_mode_16_64 0
		.amdhsa_float_denorm_mode_32 3
		.amdhsa_float_denorm_mode_16_64 3
		.amdhsa_dx10_clamp 1
		.amdhsa_ieee_mode 1
		.amdhsa_fp16_overflow 0
		.amdhsa_workgroup_processor_mode 1
		.amdhsa_memory_ordered 1
		.amdhsa_forward_progress 0
		.amdhsa_shared_vgpr_count 0
		.amdhsa_exception_fp_ieee_invalid_op 0
		.amdhsa_exception_fp_denorm_src 0
		.amdhsa_exception_fp_ieee_div_zero 0
		.amdhsa_exception_fp_ieee_overflow 0
		.amdhsa_exception_fp_ieee_underflow 0
		.amdhsa_exception_fp_ieee_inexact 0
		.amdhsa_exception_int_div_zero 0
	.end_amdhsa_kernel
	.section	.text._ZN9rocsparseL22gebsrmvn_mxn_16_kernelILj45ELj15ELj3E21rocsparse_complex_numIfEEEvi20rocsparse_direction_NS_24const_host_device_scalarIT2_EEPKiS8_PKS5_iiSA_S6_PS5_21rocsparse_index_base_b,"axG",@progbits,_ZN9rocsparseL22gebsrmvn_mxn_16_kernelILj45ELj15ELj3E21rocsparse_complex_numIfEEEvi20rocsparse_direction_NS_24const_host_device_scalarIT2_EEPKiS8_PKS5_iiSA_S6_PS5_21rocsparse_index_base_b,comdat
.Lfunc_end88:
	.size	_ZN9rocsparseL22gebsrmvn_mxn_16_kernelILj45ELj15ELj3E21rocsparse_complex_numIfEEEvi20rocsparse_direction_NS_24const_host_device_scalarIT2_EEPKiS8_PKS5_iiSA_S6_PS5_21rocsparse_index_base_b, .Lfunc_end88-_ZN9rocsparseL22gebsrmvn_mxn_16_kernelILj45ELj15ELj3E21rocsparse_complex_numIfEEEvi20rocsparse_direction_NS_24const_host_device_scalarIT2_EEPKiS8_PKS5_iiSA_S6_PS5_21rocsparse_index_base_b
                                        ; -- End function
	.section	.AMDGPU.csdata,"",@progbits
; Kernel info:
; codeLenInByte = 1412
; NumSgprs: 18
; NumVgprs: 16
; ScratchSize: 0
; MemoryBound: 0
; FloatMode: 240
; IeeeMode: 1
; LDSByteSize: 360 bytes/workgroup (compile time only)
; SGPRBlocks: 2
; VGPRBlocks: 1
; NumSGPRsForWavesPerEU: 18
; NumVGPRsForWavesPerEU: 16
; Occupancy: 16
; WaveLimiterHint : 1
; COMPUTE_PGM_RSRC2:SCRATCH_EN: 0
; COMPUTE_PGM_RSRC2:USER_SGPR: 15
; COMPUTE_PGM_RSRC2:TRAP_HANDLER: 0
; COMPUTE_PGM_RSRC2:TGID_X_EN: 1
; COMPUTE_PGM_RSRC2:TGID_Y_EN: 0
; COMPUTE_PGM_RSRC2:TGID_Z_EN: 0
; COMPUTE_PGM_RSRC2:TIDIG_COMP_CNT: 0
	.section	.text._ZN9rocsparseL22gebsrmvn_mxn_16_kernelILj60ELj15ELj4E21rocsparse_complex_numIfEEEvi20rocsparse_direction_NS_24const_host_device_scalarIT2_EEPKiS8_PKS5_iiSA_S6_PS5_21rocsparse_index_base_b,"axG",@progbits,_ZN9rocsparseL22gebsrmvn_mxn_16_kernelILj60ELj15ELj4E21rocsparse_complex_numIfEEEvi20rocsparse_direction_NS_24const_host_device_scalarIT2_EEPKiS8_PKS5_iiSA_S6_PS5_21rocsparse_index_base_b,comdat
	.globl	_ZN9rocsparseL22gebsrmvn_mxn_16_kernelILj60ELj15ELj4E21rocsparse_complex_numIfEEEvi20rocsparse_direction_NS_24const_host_device_scalarIT2_EEPKiS8_PKS5_iiSA_S6_PS5_21rocsparse_index_base_b ; -- Begin function _ZN9rocsparseL22gebsrmvn_mxn_16_kernelILj60ELj15ELj4E21rocsparse_complex_numIfEEEvi20rocsparse_direction_NS_24const_host_device_scalarIT2_EEPKiS8_PKS5_iiSA_S6_PS5_21rocsparse_index_base_b
	.p2align	8
	.type	_ZN9rocsparseL22gebsrmvn_mxn_16_kernelILj60ELj15ELj4E21rocsparse_complex_numIfEEEvi20rocsparse_direction_NS_24const_host_device_scalarIT2_EEPKiS8_PKS5_iiSA_S6_PS5_21rocsparse_index_base_b,@function
_ZN9rocsparseL22gebsrmvn_mxn_16_kernelILj60ELj15ELj4E21rocsparse_complex_numIfEEEvi20rocsparse_direction_NS_24const_host_device_scalarIT2_EEPKiS8_PKS5_iiSA_S6_PS5_21rocsparse_index_base_b: ; @_ZN9rocsparseL22gebsrmvn_mxn_16_kernelILj60ELj15ELj4E21rocsparse_complex_numIfEEEvi20rocsparse_direction_NS_24const_host_device_scalarIT2_EEPKiS8_PKS5_iiSA_S6_PS5_21rocsparse_index_base_b
; %bb.0:
	s_clause 0x2
	s_load_b64 s[10:11], s[0:1], 0x48
	s_load_b64 s[4:5], s[0:1], 0x8
	;; [unrolled: 1-line block ×3, first 2 shown]
	s_mov_b32 s8, s15
	s_waitcnt lgkmcnt(0)
	s_bitcmp1_b32 s11, 0
	v_mov_b32_e32 v9, s4
	s_cselect_b32 s6, -1, 0
	s_delay_alu instid0(SALU_CYCLE_1)
	s_and_b32 vcc_lo, exec_lo, s6
	s_xor_b32 s6, s6, -1
	s_cbranch_vccz .LBB89_15
; %bb.1:
	v_cndmask_b32_e64 v1, 0, 1, s6
	v_mov_b32_e32 v10, s5
	s_and_not1_b32 vcc_lo, exec_lo, s6
	s_cbranch_vccz .LBB89_16
.LBB89_2:
	s_delay_alu instid0(VALU_DEP_2)
	v_cmp_ne_u32_e32 vcc_lo, 1, v1
	v_mov_b32_e32 v7, s2
	s_cbranch_vccz .LBB89_17
.LBB89_3:
	v_cmp_ne_u32_e32 vcc_lo, 1, v1
	v_mov_b32_e32 v8, s3
	s_cbranch_vccnz .LBB89_5
.LBB89_4:
	v_dual_mov_b32 v1, s2 :: v_dual_mov_b32 v2, s3
	flat_load_b32 v8, v[1:2] offset:4
.LBB89_5:
	s_waitcnt vmcnt(0) lgkmcnt(0)
	v_cmp_eq_f32_e32 vcc_lo, 0, v9
	v_cmp_eq_f32_e64 s2, 0, v10
	s_delay_alu instid0(VALU_DEP_1)
	s_and_b32 s4, vcc_lo, s2
	s_mov_b32 s2, -1
	s_and_saveexec_b32 s3, s4
; %bb.6:
	v_cmp_neq_f32_e32 vcc_lo, 1.0, v7
	v_cmp_neq_f32_e64 s2, 0, v8
	s_delay_alu instid0(VALU_DEP_1) | instskip(NEXT) | instid1(SALU_CYCLE_1)
	s_or_b32 s2, vcc_lo, s2
	s_or_not1_b32 s2, s2, exec_lo
; %bb.7:
	s_or_b32 exec_lo, exec_lo, s3
	s_and_saveexec_b32 s3, s2
	s_cbranch_execz .LBB89_39
; %bb.8:
	s_clause 0x1
	s_load_b32 s4, s[0:1], 0x4
	s_load_b64 s[2:3], s[0:1], 0x10
	v_and_b32_e32 v11, 3, v0
	s_delay_alu instid0(VALU_DEP_1) | instskip(SKIP_3) | instid1(SALU_CYCLE_1)
	v_mov_b32_e32 v12, v11
	s_waitcnt lgkmcnt(0)
	s_cmp_lg_u32 s4, 1
	s_cselect_b32 s11, -1, 0
	s_and_b32 vcc_lo, exec_lo, s11
	s_cbranch_vccnz .LBB89_10
; %bb.9:
	v_mul_u32_u24_e32 v1, 0x1112, v0
	s_delay_alu instid0(VALU_DEP_1)
	v_bfe_u32 v12, v1, 16, 2
.LBB89_10:
	s_ashr_i32 s9, s8, 31
	v_dual_mov_b32 v2, 0 :: v_dual_mov_b32 v1, 0
	s_lshl_b64 s[4:5], s[8:9], 2
	s_delay_alu instid0(SALU_CYCLE_1)
	s_add_u32 s2, s2, s4
	s_addc_u32 s3, s3, s5
	s_load_b64 s[12:13], s[2:3], 0x0
	s_load_b64 s[2:3], s[0:1], 0x40
	s_waitcnt lgkmcnt(0)
	s_cmp_ge_i32 s12, s13
	s_cbranch_scc1 .LBB89_18
; %bb.11:
	s_clause 0x1
	s_load_b128 s[4:7], s[0:1], 0x18
	s_load_b64 s[0:1], s[0:1], 0x30
	v_mad_u64_u32 v[1:2], null, s12, 60, v[0:1]
	v_mul_u32_u24_e32 v3, 0x445, v0
	v_mov_b32_e32 v2, 0
	s_mul_i32 s9, s10, 60
	v_mov_b32_e32 v4, 0
	s_sub_i32 s12, s12, s10
	v_lshrrev_b32_e32 v13, 16, v3
	v_subrev_nc_u32_e32 v3, s9, v1
	v_mov_b32_e32 v1, v2
	s_sub_i32 s9, s13, s10
	s_set_inst_prefetch_distance 0x1
	s_branch .LBB89_13
	.p2align	6
.LBB89_12:                              ;   in Loop: Header=BB89_13 Depth=1
	s_or_b32 exec_lo, exec_lo, s13
	v_add_nc_u32_e32 v3, 60, v3
	s_add_i32 s12, s12, 1
	s_delay_alu instid0(SALU_CYCLE_1)
	s_cmp_ge_i32 s12, s9
	s_cbranch_scc1 .LBB89_18
.LBB89_13:                              ; =>This Inner Loop Header: Depth=1
	v_add_nc_u32_e32 v5, s12, v13
	s_mov_b32 s13, exec_lo
	s_delay_alu instid0(VALU_DEP_1)
	v_cmpx_gt_i32_e64 s9, v5
	s_cbranch_execz .LBB89_12
; %bb.14:                               ;   in Loop: Header=BB89_13 Depth=1
	v_ashrrev_i32_e32 v6, 31, v5
	v_lshlrev_b64 v[14:15], 3, v[3:4]
	s_delay_alu instid0(VALU_DEP_2) | instskip(SKIP_1) | instid1(VALU_DEP_1)
	v_lshlrev_b64 v[5:6], 2, v[5:6]
	s_waitcnt lgkmcnt(0)
	v_add_co_u32 v5, vcc_lo, s4, v5
	s_delay_alu instid0(VALU_DEP_2) | instskip(NEXT) | instid1(VALU_DEP_4)
	v_add_co_ci_u32_e32 v6, vcc_lo, s5, v6, vcc_lo
	v_add_co_u32 v14, vcc_lo, s6, v14
	v_add_co_ci_u32_e32 v15, vcc_lo, s7, v15, vcc_lo
	global_load_b32 v5, v[5:6], off
	s_waitcnt vmcnt(0)
	v_subrev_nc_u32_e32 v5, s10, v5
	s_delay_alu instid0(VALU_DEP_1) | instskip(NEXT) | instid1(VALU_DEP_1)
	v_lshl_or_b32 v5, v5, 2, v12
	v_ashrrev_i32_e32 v6, 31, v5
	s_delay_alu instid0(VALU_DEP_1) | instskip(NEXT) | instid1(VALU_DEP_1)
	v_lshlrev_b64 v[5:6], 3, v[5:6]
	v_add_co_u32 v5, vcc_lo, s0, v5
	s_delay_alu instid0(VALU_DEP_2)
	v_add_co_ci_u32_e32 v6, vcc_lo, s1, v6, vcc_lo
	global_load_b64 v[14:15], v[14:15], off
	global_load_b64 v[5:6], v[5:6], off
	s_waitcnt vmcnt(0)
	v_fmac_f32_e32 v1, v14, v5
	v_fmac_f32_e32 v2, v15, v5
	s_delay_alu instid0(VALU_DEP_2) | instskip(NEXT) | instid1(VALU_DEP_2)
	v_fma_f32 v1, -v15, v6, v1
	v_fmac_f32_e32 v2, v14, v6
	s_branch .LBB89_12
.LBB89_15:
	v_dual_mov_b32 v1, s4 :: v_dual_mov_b32 v2, s5
	flat_load_b32 v9, v[1:2]
	v_cndmask_b32_e64 v1, 0, 1, s6
	v_mov_b32_e32 v10, s5
	s_and_not1_b32 vcc_lo, exec_lo, s6
	s_cbranch_vccnz .LBB89_2
.LBB89_16:
	v_dual_mov_b32 v2, s4 :: v_dual_mov_b32 v3, s5
	flat_load_b32 v10, v[2:3] offset:4
	v_cmp_ne_u32_e32 vcc_lo, 1, v1
	v_mov_b32_e32 v7, s2
	s_cbranch_vccnz .LBB89_3
.LBB89_17:
	v_dual_mov_b32 v2, s2 :: v_dual_mov_b32 v3, s3
	flat_load_b32 v7, v[2:3]
	v_cmp_ne_u32_e32 vcc_lo, 1, v1
	v_mov_b32_e32 v8, s3
	s_cbranch_vccz .LBB89_4
	s_branch .LBB89_5
.LBB89_18:
	s_set_inst_prefetch_distance 0x2
	v_lshlrev_b32_e32 v5, 3, v0
	s_and_b32 vcc_lo, exec_lo, s11
	ds_store_b64 v5, v[1:2]
	s_waitcnt lgkmcnt(0)
	s_barrier
	buffer_gl0_inv
	s_cbranch_vccz .LBB89_26
; %bb.19:
	s_mov_b32 s0, exec_lo
	v_cmpx_gt_u32_e32 2, v11
	s_cbranch_execz .LBB89_21
; %bb.20:
	ds_load_2addr_b64 v[12:15], v5 offset1:2
	s_waitcnt lgkmcnt(0)
	v_dual_add_f32 v3, v14, v12 :: v_dual_add_f32 v4, v15, v13
	ds_store_b64 v5, v[3:4]
.LBB89_21:
	s_or_b32 exec_lo, exec_lo, s0
	s_delay_alu instid0(SALU_CYCLE_1)
	s_mov_b32 s0, exec_lo
	s_waitcnt lgkmcnt(0)
	s_barrier
	buffer_gl0_inv
	v_cmpx_eq_u32_e32 0, v11
	s_cbranch_execz .LBB89_23
; %bb.22:
	ds_load_2addr_b64 v[11:14], v5 offset1:1
	s_waitcnt lgkmcnt(0)
	v_dual_add_f32 v3, v13, v11 :: v_dual_add_f32 v4, v14, v12
	ds_store_b64 v5, v[3:4]
.LBB89_23:
	s_or_b32 exec_lo, exec_lo, s0
	v_dual_mov_b32 v4, v2 :: v_dual_mov_b32 v3, v1
	s_mov_b32 s0, exec_lo
	s_waitcnt lgkmcnt(0)
	s_barrier
	buffer_gl0_inv
	v_cmpx_gt_u32_e32 15, v0
	s_cbranch_execz .LBB89_25
; %bb.24:
	v_mad_u32_u24 v3, v0, 24, v5
	ds_load_b64 v[3:4], v3
.LBB89_25:
	s_or_b32 exec_lo, exec_lo, s0
	s_branch .LBB89_34
.LBB89_26:
                                        ; implicit-def: $vgpr4
	s_cbranch_execz .LBB89_34
; %bb.27:
	s_mov_b32 s0, exec_lo
	v_cmpx_gt_u32_e32 30, v0
	s_cbranch_execz .LBB89_29
; %bb.28:
	ds_load_2addr_b64 v[11:14], v5 offset1:30
	s_waitcnt lgkmcnt(0)
	v_dual_add_f32 v3, v13, v11 :: v_dual_add_f32 v4, v14, v12
	ds_store_b64 v5, v[3:4]
.LBB89_29:
	s_or_b32 exec_lo, exec_lo, s0
	s_delay_alu instid0(SALU_CYCLE_1)
	s_mov_b32 s0, exec_lo
	s_waitcnt lgkmcnt(0)
	buffer_gl0_inv
	v_cmpx_lt_u32_e32 14, v0
	s_xor_b32 s0, exec_lo, s0
	s_cbranch_execz .LBB89_31
; %bb.30:
	buffer_gl0_inv
                                        ; implicit-def: $vgpr5
.LBB89_31:
	s_and_not1_saveexec_b32 s0, s0
	s_cbranch_execz .LBB89_33
; %bb.32:
	ds_load_2addr_b64 v[1:4], v5 offset1:15
	s_waitcnt lgkmcnt(0)
	v_dual_add_f32 v1, v3, v1 :: v_dual_add_f32 v2, v4, v2
	ds_store_b64 v5, v[1:2]
	s_waitcnt lgkmcnt(0)
	buffer_gl0_inv
	ds_load_b64 v[1:2], v5
.LBB89_33:
	s_or_b32 exec_lo, exec_lo, s0
	s_waitcnt lgkmcnt(0)
	v_dual_mov_b32 v4, v2 :: v_dual_mov_b32 v3, v1
.LBB89_34:
	v_cmp_gt_u32_e32 vcc_lo, 15, v0
	s_and_b32 exec_lo, exec_lo, vcc_lo
	s_cbranch_execz .LBB89_39
; %bb.35:
	s_waitcnt lgkmcnt(0)
	v_mul_f32_e64 v1, v4, -v10
	v_mul_f32_e32 v2, v4, v9
	v_cmp_eq_f32_e32 vcc_lo, 0, v7
	v_cmp_eq_f32_e64 s0, 0, v8
	s_delay_alu instid0(VALU_DEP_4) | instskip(NEXT) | instid1(VALU_DEP_4)
	v_fmac_f32_e32 v1, v9, v3
	v_fmac_f32_e32 v2, v10, v3
	s_delay_alu instid0(VALU_DEP_3) | instskip(NEXT) | instid1(SALU_CYCLE_1)
	s_and_b32 s0, vcc_lo, s0
	s_and_saveexec_b32 s1, s0
	s_delay_alu instid0(SALU_CYCLE_1)
	s_xor_b32 s0, exec_lo, s1
	s_cbranch_execz .LBB89_37
; %bb.36:
	v_mad_u64_u32 v[3:4], null, s8, 15, v[0:1]
	v_mov_b32_e32 v4, 0
                                        ; implicit-def: $vgpr0
                                        ; implicit-def: $vgpr7
                                        ; implicit-def: $vgpr8
	s_delay_alu instid0(VALU_DEP_1) | instskip(NEXT) | instid1(VALU_DEP_1)
	v_lshlrev_b64 v[3:4], 3, v[3:4]
	v_add_co_u32 v3, vcc_lo, s2, v3
	s_delay_alu instid0(VALU_DEP_2)
	v_add_co_ci_u32_e32 v4, vcc_lo, s3, v4, vcc_lo
	global_store_b64 v[3:4], v[1:2], off
                                        ; implicit-def: $vgpr1
.LBB89_37:
	s_and_not1_saveexec_b32 s0, s0
	s_cbranch_execz .LBB89_39
; %bb.38:
	v_mad_u64_u32 v[3:4], null, s8, 15, v[0:1]
	v_mov_b32_e32 v4, 0
	s_delay_alu instid0(VALU_DEP_1) | instskip(NEXT) | instid1(VALU_DEP_1)
	v_lshlrev_b64 v[3:4], 3, v[3:4]
	v_add_co_u32 v3, vcc_lo, s2, v3
	s_delay_alu instid0(VALU_DEP_2) | instskip(SKIP_4) | instid1(VALU_DEP_2)
	v_add_co_ci_u32_e32 v4, vcc_lo, s3, v4, vcc_lo
	global_load_b64 v[5:6], v[3:4], off
	s_waitcnt vmcnt(0)
	v_fmac_f32_e32 v1, v7, v5
	v_fmac_f32_e32 v2, v8, v5
	v_fma_f32 v1, -v8, v6, v1
	s_delay_alu instid0(VALU_DEP_2)
	v_fmac_f32_e32 v2, v7, v6
	global_store_b64 v[3:4], v[1:2], off
.LBB89_39:
	s_nop 0
	s_sendmsg sendmsg(MSG_DEALLOC_VGPRS)
	s_endpgm
	.section	.rodata,"a",@progbits
	.p2align	6, 0x0
	.amdhsa_kernel _ZN9rocsparseL22gebsrmvn_mxn_16_kernelILj60ELj15ELj4E21rocsparse_complex_numIfEEEvi20rocsparse_direction_NS_24const_host_device_scalarIT2_EEPKiS8_PKS5_iiSA_S6_PS5_21rocsparse_index_base_b
		.amdhsa_group_segment_fixed_size 480
		.amdhsa_private_segment_fixed_size 0
		.amdhsa_kernarg_size 80
		.amdhsa_user_sgpr_count 15
		.amdhsa_user_sgpr_dispatch_ptr 0
		.amdhsa_user_sgpr_queue_ptr 0
		.amdhsa_user_sgpr_kernarg_segment_ptr 1
		.amdhsa_user_sgpr_dispatch_id 0
		.amdhsa_user_sgpr_private_segment_size 0
		.amdhsa_wavefront_size32 1
		.amdhsa_uses_dynamic_stack 0
		.amdhsa_enable_private_segment 0
		.amdhsa_system_sgpr_workgroup_id_x 1
		.amdhsa_system_sgpr_workgroup_id_y 0
		.amdhsa_system_sgpr_workgroup_id_z 0
		.amdhsa_system_sgpr_workgroup_info 0
		.amdhsa_system_vgpr_workitem_id 0
		.amdhsa_next_free_vgpr 16
		.amdhsa_next_free_sgpr 16
		.amdhsa_reserve_vcc 1
		.amdhsa_float_round_mode_32 0
		.amdhsa_float_round_mode_16_64 0
		.amdhsa_float_denorm_mode_32 3
		.amdhsa_float_denorm_mode_16_64 3
		.amdhsa_dx10_clamp 1
		.amdhsa_ieee_mode 1
		.amdhsa_fp16_overflow 0
		.amdhsa_workgroup_processor_mode 1
		.amdhsa_memory_ordered 1
		.amdhsa_forward_progress 0
		.amdhsa_shared_vgpr_count 0
		.amdhsa_exception_fp_ieee_invalid_op 0
		.amdhsa_exception_fp_denorm_src 0
		.amdhsa_exception_fp_ieee_div_zero 0
		.amdhsa_exception_fp_ieee_overflow 0
		.amdhsa_exception_fp_ieee_underflow 0
		.amdhsa_exception_fp_ieee_inexact 0
		.amdhsa_exception_int_div_zero 0
	.end_amdhsa_kernel
	.section	.text._ZN9rocsparseL22gebsrmvn_mxn_16_kernelILj60ELj15ELj4E21rocsparse_complex_numIfEEEvi20rocsparse_direction_NS_24const_host_device_scalarIT2_EEPKiS8_PKS5_iiSA_S6_PS5_21rocsparse_index_base_b,"axG",@progbits,_ZN9rocsparseL22gebsrmvn_mxn_16_kernelILj60ELj15ELj4E21rocsparse_complex_numIfEEEvi20rocsparse_direction_NS_24const_host_device_scalarIT2_EEPKiS8_PKS5_iiSA_S6_PS5_21rocsparse_index_base_b,comdat
.Lfunc_end89:
	.size	_ZN9rocsparseL22gebsrmvn_mxn_16_kernelILj60ELj15ELj4E21rocsparse_complex_numIfEEEvi20rocsparse_direction_NS_24const_host_device_scalarIT2_EEPKiS8_PKS5_iiSA_S6_PS5_21rocsparse_index_base_b, .Lfunc_end89-_ZN9rocsparseL22gebsrmvn_mxn_16_kernelILj60ELj15ELj4E21rocsparse_complex_numIfEEEvi20rocsparse_direction_NS_24const_host_device_scalarIT2_EEPKiS8_PKS5_iiSA_S6_PS5_21rocsparse_index_base_b
                                        ; -- End function
	.section	.AMDGPU.csdata,"",@progbits
; Kernel info:
; codeLenInByte = 1304
; NumSgprs: 18
; NumVgprs: 16
; ScratchSize: 0
; MemoryBound: 0
; FloatMode: 240
; IeeeMode: 1
; LDSByteSize: 480 bytes/workgroup (compile time only)
; SGPRBlocks: 2
; VGPRBlocks: 1
; NumSGPRsForWavesPerEU: 18
; NumVGPRsForWavesPerEU: 16
; Occupancy: 16
; WaveLimiterHint : 1
; COMPUTE_PGM_RSRC2:SCRATCH_EN: 0
; COMPUTE_PGM_RSRC2:USER_SGPR: 15
; COMPUTE_PGM_RSRC2:TRAP_HANDLER: 0
; COMPUTE_PGM_RSRC2:TGID_X_EN: 1
; COMPUTE_PGM_RSRC2:TGID_Y_EN: 0
; COMPUTE_PGM_RSRC2:TGID_Z_EN: 0
; COMPUTE_PGM_RSRC2:TIDIG_COMP_CNT: 0
	.section	.text._ZN9rocsparseL22gebsrmvn_mxn_16_kernelILj75ELj15ELj5E21rocsparse_complex_numIfEEEvi20rocsparse_direction_NS_24const_host_device_scalarIT2_EEPKiS8_PKS5_iiSA_S6_PS5_21rocsparse_index_base_b,"axG",@progbits,_ZN9rocsparseL22gebsrmvn_mxn_16_kernelILj75ELj15ELj5E21rocsparse_complex_numIfEEEvi20rocsparse_direction_NS_24const_host_device_scalarIT2_EEPKiS8_PKS5_iiSA_S6_PS5_21rocsparse_index_base_b,comdat
	.globl	_ZN9rocsparseL22gebsrmvn_mxn_16_kernelILj75ELj15ELj5E21rocsparse_complex_numIfEEEvi20rocsparse_direction_NS_24const_host_device_scalarIT2_EEPKiS8_PKS5_iiSA_S6_PS5_21rocsparse_index_base_b ; -- Begin function _ZN9rocsparseL22gebsrmvn_mxn_16_kernelILj75ELj15ELj5E21rocsparse_complex_numIfEEEvi20rocsparse_direction_NS_24const_host_device_scalarIT2_EEPKiS8_PKS5_iiSA_S6_PS5_21rocsparse_index_base_b
	.p2align	8
	.type	_ZN9rocsparseL22gebsrmvn_mxn_16_kernelILj75ELj15ELj5E21rocsparse_complex_numIfEEEvi20rocsparse_direction_NS_24const_host_device_scalarIT2_EEPKiS8_PKS5_iiSA_S6_PS5_21rocsparse_index_base_b,@function
_ZN9rocsparseL22gebsrmvn_mxn_16_kernelILj75ELj15ELj5E21rocsparse_complex_numIfEEEvi20rocsparse_direction_NS_24const_host_device_scalarIT2_EEPKiS8_PKS5_iiSA_S6_PS5_21rocsparse_index_base_b: ; @_ZN9rocsparseL22gebsrmvn_mxn_16_kernelILj75ELj15ELj5E21rocsparse_complex_numIfEEEvi20rocsparse_direction_NS_24const_host_device_scalarIT2_EEPKiS8_PKS5_iiSA_S6_PS5_21rocsparse_index_base_b
; %bb.0:
	s_clause 0x2
	s_load_b64 s[10:11], s[0:1], 0x48
	s_load_b64 s[4:5], s[0:1], 0x8
	;; [unrolled: 1-line block ×3, first 2 shown]
	s_mov_b32 s8, s15
	s_waitcnt lgkmcnt(0)
	s_bitcmp1_b32 s11, 0
	v_mov_b32_e32 v10, s4
	s_cselect_b32 s6, -1, 0
	s_delay_alu instid0(SALU_CYCLE_1)
	s_and_b32 vcc_lo, exec_lo, s6
	s_xor_b32 s6, s6, -1
	s_cbranch_vccz .LBB90_15
; %bb.1:
	v_cndmask_b32_e64 v1, 0, 1, s6
	v_mov_b32_e32 v11, s5
	s_and_not1_b32 vcc_lo, exec_lo, s6
	s_cbranch_vccz .LBB90_16
.LBB90_2:
	s_delay_alu instid0(VALU_DEP_2)
	v_cmp_ne_u32_e32 vcc_lo, 1, v1
	v_mov_b32_e32 v8, s2
	s_cbranch_vccz .LBB90_17
.LBB90_3:
	v_cmp_ne_u32_e32 vcc_lo, 1, v1
	v_mov_b32_e32 v9, s3
	s_cbranch_vccnz .LBB90_5
.LBB90_4:
	v_dual_mov_b32 v1, s2 :: v_dual_mov_b32 v2, s3
	flat_load_b32 v9, v[1:2] offset:4
.LBB90_5:
	s_waitcnt vmcnt(0) lgkmcnt(0)
	v_cmp_eq_f32_e32 vcc_lo, 0, v10
	v_cmp_eq_f32_e64 s2, 0, v11
	s_delay_alu instid0(VALU_DEP_1)
	s_and_b32 s4, vcc_lo, s2
	s_mov_b32 s2, -1
	s_and_saveexec_b32 s3, s4
; %bb.6:
	v_cmp_neq_f32_e32 vcc_lo, 1.0, v8
	v_cmp_neq_f32_e64 s2, 0, v9
	s_delay_alu instid0(VALU_DEP_1) | instskip(NEXT) | instid1(SALU_CYCLE_1)
	s_or_b32 s2, vcc_lo, s2
	s_or_not1_b32 s2, s2, exec_lo
; %bb.7:
	s_or_b32 exec_lo, exec_lo, s3
	s_and_saveexec_b32 s3, s2
	s_cbranch_execz .LBB90_43
; %bb.8:
	v_mul_u32_u24_e32 v1, 0x3334, v0
	s_clause 0x1
	s_load_b32 s4, s[0:1], 0x4
	s_load_b64 s[2:3], s[0:1], 0x10
	s_delay_alu instid0(VALU_DEP_1) | instskip(NEXT) | instid1(VALU_DEP_1)
	v_lshrrev_b32_e32 v1, 16, v1
	v_mul_lo_u16 v1, v1, 5
	s_delay_alu instid0(VALU_DEP_1) | instskip(NEXT) | instid1(VALU_DEP_1)
	v_sub_nc_u16 v1, v0, v1
	v_and_b32_e32 v12, 0xffff, v1
	s_waitcnt lgkmcnt(0)
	s_cmp_lg_u32 s4, 1
	v_and_b32_e32 v4, 0xffff, v0
	s_cselect_b32 s11, -1, 0
	v_mov_b32_e32 v3, v12
	s_and_b32 vcc_lo, exec_lo, s11
	s_cbranch_vccnz .LBB90_10
; %bb.9:
	v_mul_u32_u24_e32 v1, 0x1112, v4
	s_delay_alu instid0(VALU_DEP_1) | instskip(NEXT) | instid1(VALU_DEP_1)
	v_lshrrev_b32_e32 v1, 16, v1
	v_mul_lo_u16 v2, v1, 52
	s_delay_alu instid0(VALU_DEP_1) | instskip(NEXT) | instid1(VALU_DEP_1)
	v_lshrrev_b16 v2, 8, v2
	v_mul_lo_u16 v2, v2, 5
	s_delay_alu instid0(VALU_DEP_1) | instskip(NEXT) | instid1(VALU_DEP_1)
	v_sub_nc_u16 v1, v1, v2
	v_and_b32_e32 v3, 0xff, v1
.LBB90_10:
	s_ashr_i32 s9, s8, 31
	v_dual_mov_b32 v2, 0 :: v_dual_mov_b32 v1, 0
	s_lshl_b64 s[4:5], s[8:9], 2
	s_delay_alu instid0(SALU_CYCLE_1)
	s_add_u32 s2, s2, s4
	s_addc_u32 s3, s3, s5
	s_load_b64 s[12:13], s[2:3], 0x0
	s_load_b64 s[2:3], s[0:1], 0x40
	s_waitcnt lgkmcnt(0)
	s_cmp_ge_i32 s12, s13
	s_cbranch_scc1 .LBB90_18
; %bb.11:
	s_clause 0x1
	s_load_b128 s[4:7], s[0:1], 0x18
	s_load_b64 s[0:1], s[0:1], 0x30
	v_mad_u64_u32 v[1:2], null, 0x4b, s12, v[0:1]
	v_mul_u32_u24_e32 v4, 0x36a, v4
	v_dual_mov_b32 v2, 0 :: v_dual_mov_b32 v5, 0
	s_mul_i32 s9, s10, 0x4b
	s_sub_i32 s12, s12, s10
	s_delay_alu instid0(VALU_DEP_2) | instskip(NEXT) | instid1(VALU_DEP_4)
	v_lshrrev_b32_e32 v13, 16, v4
	v_subrev_nc_u32_e32 v4, s9, v1
	v_mov_b32_e32 v1, v2
	s_sub_i32 s9, s13, s10
	s_set_inst_prefetch_distance 0x1
	s_branch .LBB90_13
	.p2align	6
.LBB90_12:                              ;   in Loop: Header=BB90_13 Depth=1
	s_or_b32 exec_lo, exec_lo, s13
	v_add_nc_u32_e32 v4, 0x4b, v4
	s_add_i32 s12, s12, 1
	s_delay_alu instid0(SALU_CYCLE_1)
	s_cmp_ge_i32 s12, s9
	s_cbranch_scc1 .LBB90_18
.LBB90_13:                              ; =>This Inner Loop Header: Depth=1
	v_add_nc_u32_e32 v6, s12, v13
	s_mov_b32 s13, exec_lo
	s_delay_alu instid0(VALU_DEP_1)
	v_cmpx_gt_i32_e64 s9, v6
	s_cbranch_execz .LBB90_12
; %bb.14:                               ;   in Loop: Header=BB90_13 Depth=1
	v_ashrrev_i32_e32 v7, 31, v6
	s_delay_alu instid0(VALU_DEP_1) | instskip(SKIP_1) | instid1(VALU_DEP_1)
	v_lshlrev_b64 v[6:7], 2, v[6:7]
	s_waitcnt lgkmcnt(0)
	v_add_co_u32 v6, vcc_lo, s4, v6
	s_delay_alu instid0(VALU_DEP_2) | instskip(SKIP_3) | instid1(VALU_DEP_1)
	v_add_co_ci_u32_e32 v7, vcc_lo, s5, v7, vcc_lo
	global_load_b32 v6, v[6:7], off
	s_waitcnt vmcnt(0)
	v_subrev_nc_u32_e32 v14, s10, v6
	v_mad_u64_u32 v[6:7], null, v14, 5, v[3:4]
	v_lshlrev_b64 v[14:15], 3, v[4:5]
	s_delay_alu instid0(VALU_DEP_1) | instskip(NEXT) | instid1(VALU_DEP_3)
	v_add_co_u32 v14, vcc_lo, s6, v14
	v_ashrrev_i32_e32 v7, 31, v6
	s_delay_alu instid0(VALU_DEP_3) | instskip(NEXT) | instid1(VALU_DEP_2)
	v_add_co_ci_u32_e32 v15, vcc_lo, s7, v15, vcc_lo
	v_lshlrev_b64 v[6:7], 3, v[6:7]
	s_delay_alu instid0(VALU_DEP_1) | instskip(NEXT) | instid1(VALU_DEP_2)
	v_add_co_u32 v6, vcc_lo, s0, v6
	v_add_co_ci_u32_e32 v7, vcc_lo, s1, v7, vcc_lo
	global_load_b64 v[14:15], v[14:15], off
	global_load_b64 v[6:7], v[6:7], off
	s_waitcnt vmcnt(0)
	v_fmac_f32_e32 v1, v14, v6
	v_fmac_f32_e32 v2, v15, v6
	s_delay_alu instid0(VALU_DEP_2) | instskip(NEXT) | instid1(VALU_DEP_2)
	v_fma_f32 v1, -v15, v7, v1
	v_fmac_f32_e32 v2, v14, v7
	s_branch .LBB90_12
.LBB90_15:
	v_dual_mov_b32 v1, s4 :: v_dual_mov_b32 v2, s5
	flat_load_b32 v10, v[1:2]
	v_cndmask_b32_e64 v1, 0, 1, s6
	v_mov_b32_e32 v11, s5
	s_and_not1_b32 vcc_lo, exec_lo, s6
	s_cbranch_vccnz .LBB90_2
.LBB90_16:
	v_dual_mov_b32 v2, s4 :: v_dual_mov_b32 v3, s5
	flat_load_b32 v11, v[2:3] offset:4
	v_cmp_ne_u32_e32 vcc_lo, 1, v1
	v_mov_b32_e32 v8, s2
	s_cbranch_vccnz .LBB90_3
.LBB90_17:
	v_dual_mov_b32 v2, s2 :: v_dual_mov_b32 v3, s3
	flat_load_b32 v8, v[2:3]
	v_cmp_ne_u32_e32 vcc_lo, 1, v1
	v_mov_b32_e32 v9, s3
	s_cbranch_vccz .LBB90_4
	s_branch .LBB90_5
.LBB90_18:
	s_set_inst_prefetch_distance 0x2
	v_lshlrev_b32_e32 v5, 3, v0
	s_and_b32 vcc_lo, exec_lo, s11
	ds_store_b64 v5, v[1:2]
	s_waitcnt lgkmcnt(0)
	s_barrier
	buffer_gl0_inv
	s_cbranch_vccz .LBB90_28
; %bb.19:
	v_cmp_eq_u16_e32 vcc_lo, 0, v12
	s_and_saveexec_b32 s0, vcc_lo
	s_cbranch_execz .LBB90_21
; %bb.20:
	ds_load_2addr_b64 v[13:16], v5 offset1:4
	s_waitcnt lgkmcnt(0)
	v_dual_add_f32 v3, v15, v13 :: v_dual_add_f32 v4, v16, v14
	ds_store_b64 v5, v[3:4]
.LBB90_21:
	s_or_b32 exec_lo, exec_lo, s0
	s_delay_alu instid0(SALU_CYCLE_1)
	s_mov_b32 s1, exec_lo
	s_waitcnt lgkmcnt(0)
	s_barrier
	buffer_gl0_inv
	v_cmpx_gt_u16_e32 2, v12
	s_cbranch_execz .LBB90_23
; %bb.22:
	ds_load_2addr_b64 v[12:15], v5 offset1:2
	s_waitcnt lgkmcnt(0)
	v_dual_add_f32 v3, v14, v12 :: v_dual_add_f32 v4, v15, v13
	ds_store_b64 v5, v[3:4]
.LBB90_23:
	s_or_b32 exec_lo, exec_lo, s1
	s_waitcnt lgkmcnt(0)
	s_barrier
	buffer_gl0_inv
	s_and_saveexec_b32 s0, vcc_lo
	s_cbranch_execz .LBB90_25
; %bb.24:
	ds_load_2addr_b64 v[12:15], v5 offset1:1
	s_waitcnt lgkmcnt(0)
	v_dual_add_f32 v3, v14, v12 :: v_dual_add_f32 v4, v15, v13
	ds_store_b64 v5, v[3:4]
.LBB90_25:
	s_or_b32 exec_lo, exec_lo, s0
	v_dual_mov_b32 v4, v2 :: v_dual_mov_b32 v3, v1
	s_mov_b32 s0, exec_lo
	s_waitcnt lgkmcnt(0)
	s_barrier
	buffer_gl0_inv
	v_cmpx_gt_u32_e32 15, v0
	s_cbranch_execz .LBB90_27
; %bb.26:
	v_lshl_add_u32 v3, v0, 5, v5
	ds_load_b64 v[3:4], v3
.LBB90_27:
	s_or_b32 exec_lo, exec_lo, s0
	v_cmp_gt_u32_e64 s0, 15, v0
	s_branch .LBB90_38
.LBB90_28:
                                        ; implicit-def: $vgpr4
	v_cmp_gt_u32_e64 s0, 15, v0
	s_cbranch_execz .LBB90_38
; %bb.29:
	v_cmp_lt_u32_e32 vcc_lo, 14, v0
	s_delay_alu instid0(VALU_DEP_2)
	s_and_saveexec_b32 s1, s0
	s_cbranch_execz .LBB90_31
; %bb.30:
	ds_load_2addr_b64 v[12:15], v5 offset1:60
	s_waitcnt lgkmcnt(0)
	v_dual_add_f32 v3, v14, v12 :: v_dual_add_f32 v4, v15, v13
	ds_store_b64 v5, v[3:4]
.LBB90_31:
	s_or_b32 exec_lo, exec_lo, s1
	s_delay_alu instid0(SALU_CYCLE_1)
	s_mov_b32 s1, exec_lo
	s_waitcnt lgkmcnt(0)
	s_barrier
	buffer_gl0_inv
	v_cmpx_gt_u32_e32 30, v0
	s_cbranch_execz .LBB90_33
; %bb.32:
	ds_load_2addr_b64 v[12:15], v5 offset1:30
	s_waitcnt lgkmcnt(0)
	v_dual_add_f32 v3, v14, v12 :: v_dual_add_f32 v4, v15, v13
	ds_store_b64 v5, v[3:4]
.LBB90_33:
	s_or_b32 exec_lo, exec_lo, s1
	s_waitcnt lgkmcnt(0)
	buffer_gl0_inv
	s_and_saveexec_b32 s0, vcc_lo
	s_delay_alu instid0(SALU_CYCLE_1)
	s_xor_b32 s0, exec_lo, s0
	s_cbranch_execz .LBB90_35
; %bb.34:
	buffer_gl0_inv
                                        ; implicit-def: $vgpr5
.LBB90_35:
	s_and_not1_saveexec_b32 s0, s0
	s_cbranch_execz .LBB90_37
; %bb.36:
	ds_load_2addr_b64 v[1:4], v5 offset1:15
	s_waitcnt lgkmcnt(0)
	v_dual_add_f32 v1, v3, v1 :: v_dual_add_f32 v2, v4, v2
	ds_store_b64 v5, v[1:2]
	s_waitcnt lgkmcnt(0)
	buffer_gl0_inv
	ds_load_b64 v[1:2], v5
.LBB90_37:
	s_or_b32 exec_lo, exec_lo, s0
	s_waitcnt lgkmcnt(0)
	v_dual_mov_b32 v4, v2 :: v_dual_mov_b32 v3, v1
.LBB90_38:
	v_cmp_gt_u32_e32 vcc_lo, 15, v0
	s_and_b32 exec_lo, exec_lo, vcc_lo
	s_cbranch_execz .LBB90_43
; %bb.39:
	s_waitcnt lgkmcnt(0)
	v_mul_f32_e64 v1, v4, -v11
	v_mul_f32_e32 v2, v4, v10
	v_cmp_eq_f32_e32 vcc_lo, 0, v8
	v_cmp_eq_f32_e64 s0, 0, v9
	s_delay_alu instid0(VALU_DEP_4) | instskip(NEXT) | instid1(VALU_DEP_4)
	v_fmac_f32_e32 v1, v10, v3
	v_fmac_f32_e32 v2, v11, v3
	s_delay_alu instid0(VALU_DEP_3) | instskip(NEXT) | instid1(SALU_CYCLE_1)
	s_and_b32 s0, vcc_lo, s0
	s_and_saveexec_b32 s1, s0
	s_delay_alu instid0(SALU_CYCLE_1)
	s_xor_b32 s0, exec_lo, s1
	s_cbranch_execz .LBB90_41
; %bb.40:
	v_mad_u64_u32 v[3:4], null, s8, 15, v[0:1]
	v_mov_b32_e32 v4, 0
                                        ; implicit-def: $vgpr0
                                        ; implicit-def: $vgpr8
                                        ; implicit-def: $vgpr9
	s_delay_alu instid0(VALU_DEP_1) | instskip(NEXT) | instid1(VALU_DEP_1)
	v_lshlrev_b64 v[3:4], 3, v[3:4]
	v_add_co_u32 v3, vcc_lo, s2, v3
	s_delay_alu instid0(VALU_DEP_2)
	v_add_co_ci_u32_e32 v4, vcc_lo, s3, v4, vcc_lo
	global_store_b64 v[3:4], v[1:2], off
                                        ; implicit-def: $vgpr1
.LBB90_41:
	s_and_not1_saveexec_b32 s0, s0
	s_cbranch_execz .LBB90_43
; %bb.42:
	v_mad_u64_u32 v[3:4], null, s8, 15, v[0:1]
	v_mov_b32_e32 v4, 0
	s_delay_alu instid0(VALU_DEP_1) | instskip(NEXT) | instid1(VALU_DEP_1)
	v_lshlrev_b64 v[3:4], 3, v[3:4]
	v_add_co_u32 v3, vcc_lo, s2, v3
	s_delay_alu instid0(VALU_DEP_2) | instskip(SKIP_4) | instid1(VALU_DEP_2)
	v_add_co_ci_u32_e32 v4, vcc_lo, s3, v4, vcc_lo
	global_load_b64 v[5:6], v[3:4], off
	s_waitcnt vmcnt(0)
	v_fmac_f32_e32 v1, v8, v5
	v_fmac_f32_e32 v2, v9, v5
	v_fma_f32 v1, -v9, v6, v1
	s_delay_alu instid0(VALU_DEP_2)
	v_fmac_f32_e32 v2, v8, v6
	global_store_b64 v[3:4], v[1:2], off
.LBB90_43:
	s_nop 0
	s_sendmsg sendmsg(MSG_DEALLOC_VGPRS)
	s_endpgm
	.section	.rodata,"a",@progbits
	.p2align	6, 0x0
	.amdhsa_kernel _ZN9rocsparseL22gebsrmvn_mxn_16_kernelILj75ELj15ELj5E21rocsparse_complex_numIfEEEvi20rocsparse_direction_NS_24const_host_device_scalarIT2_EEPKiS8_PKS5_iiSA_S6_PS5_21rocsparse_index_base_b
		.amdhsa_group_segment_fixed_size 600
		.amdhsa_private_segment_fixed_size 0
		.amdhsa_kernarg_size 80
		.amdhsa_user_sgpr_count 15
		.amdhsa_user_sgpr_dispatch_ptr 0
		.amdhsa_user_sgpr_queue_ptr 0
		.amdhsa_user_sgpr_kernarg_segment_ptr 1
		.amdhsa_user_sgpr_dispatch_id 0
		.amdhsa_user_sgpr_private_segment_size 0
		.amdhsa_wavefront_size32 1
		.amdhsa_uses_dynamic_stack 0
		.amdhsa_enable_private_segment 0
		.amdhsa_system_sgpr_workgroup_id_x 1
		.amdhsa_system_sgpr_workgroup_id_y 0
		.amdhsa_system_sgpr_workgroup_id_z 0
		.amdhsa_system_sgpr_workgroup_info 0
		.amdhsa_system_vgpr_workitem_id 0
		.amdhsa_next_free_vgpr 17
		.amdhsa_next_free_sgpr 16
		.amdhsa_reserve_vcc 1
		.amdhsa_float_round_mode_32 0
		.amdhsa_float_round_mode_16_64 0
		.amdhsa_float_denorm_mode_32 3
		.amdhsa_float_denorm_mode_16_64 3
		.amdhsa_dx10_clamp 1
		.amdhsa_ieee_mode 1
		.amdhsa_fp16_overflow 0
		.amdhsa_workgroup_processor_mode 1
		.amdhsa_memory_ordered 1
		.amdhsa_forward_progress 0
		.amdhsa_shared_vgpr_count 0
		.amdhsa_exception_fp_ieee_invalid_op 0
		.amdhsa_exception_fp_denorm_src 0
		.amdhsa_exception_fp_ieee_div_zero 0
		.amdhsa_exception_fp_ieee_overflow 0
		.amdhsa_exception_fp_ieee_underflow 0
		.amdhsa_exception_fp_ieee_inexact 0
		.amdhsa_exception_int_div_zero 0
	.end_amdhsa_kernel
	.section	.text._ZN9rocsparseL22gebsrmvn_mxn_16_kernelILj75ELj15ELj5E21rocsparse_complex_numIfEEEvi20rocsparse_direction_NS_24const_host_device_scalarIT2_EEPKiS8_PKS5_iiSA_S6_PS5_21rocsparse_index_base_b,"axG",@progbits,_ZN9rocsparseL22gebsrmvn_mxn_16_kernelILj75ELj15ELj5E21rocsparse_complex_numIfEEEvi20rocsparse_direction_NS_24const_host_device_scalarIT2_EEPKiS8_PKS5_iiSA_S6_PS5_21rocsparse_index_base_b,comdat
.Lfunc_end90:
	.size	_ZN9rocsparseL22gebsrmvn_mxn_16_kernelILj75ELj15ELj5E21rocsparse_complex_numIfEEEvi20rocsparse_direction_NS_24const_host_device_scalarIT2_EEPKiS8_PKS5_iiSA_S6_PS5_21rocsparse_index_base_b, .Lfunc_end90-_ZN9rocsparseL22gebsrmvn_mxn_16_kernelILj75ELj15ELj5E21rocsparse_complex_numIfEEEvi20rocsparse_direction_NS_24const_host_device_scalarIT2_EEPKiS8_PKS5_iiSA_S6_PS5_21rocsparse_index_base_b
                                        ; -- End function
	.section	.AMDGPU.csdata,"",@progbits
; Kernel info:
; codeLenInByte = 1544
; NumSgprs: 18
; NumVgprs: 17
; ScratchSize: 0
; MemoryBound: 0
; FloatMode: 240
; IeeeMode: 1
; LDSByteSize: 600 bytes/workgroup (compile time only)
; SGPRBlocks: 2
; VGPRBlocks: 2
; NumSGPRsForWavesPerEU: 18
; NumVGPRsForWavesPerEU: 17
; Occupancy: 16
; WaveLimiterHint : 1
; COMPUTE_PGM_RSRC2:SCRATCH_EN: 0
; COMPUTE_PGM_RSRC2:USER_SGPR: 15
; COMPUTE_PGM_RSRC2:TRAP_HANDLER: 0
; COMPUTE_PGM_RSRC2:TGID_X_EN: 1
; COMPUTE_PGM_RSRC2:TGID_Y_EN: 0
; COMPUTE_PGM_RSRC2:TGID_Z_EN: 0
; COMPUTE_PGM_RSRC2:TIDIG_COMP_CNT: 0
	.section	.text._ZN9rocsparseL22gebsrmvn_mxn_16_kernelILj90ELj15ELj6E21rocsparse_complex_numIfEEEvi20rocsparse_direction_NS_24const_host_device_scalarIT2_EEPKiS8_PKS5_iiSA_S6_PS5_21rocsparse_index_base_b,"axG",@progbits,_ZN9rocsparseL22gebsrmvn_mxn_16_kernelILj90ELj15ELj6E21rocsparse_complex_numIfEEEvi20rocsparse_direction_NS_24const_host_device_scalarIT2_EEPKiS8_PKS5_iiSA_S6_PS5_21rocsparse_index_base_b,comdat
	.globl	_ZN9rocsparseL22gebsrmvn_mxn_16_kernelILj90ELj15ELj6E21rocsparse_complex_numIfEEEvi20rocsparse_direction_NS_24const_host_device_scalarIT2_EEPKiS8_PKS5_iiSA_S6_PS5_21rocsparse_index_base_b ; -- Begin function _ZN9rocsparseL22gebsrmvn_mxn_16_kernelILj90ELj15ELj6E21rocsparse_complex_numIfEEEvi20rocsparse_direction_NS_24const_host_device_scalarIT2_EEPKiS8_PKS5_iiSA_S6_PS5_21rocsparse_index_base_b
	.p2align	8
	.type	_ZN9rocsparseL22gebsrmvn_mxn_16_kernelILj90ELj15ELj6E21rocsparse_complex_numIfEEEvi20rocsparse_direction_NS_24const_host_device_scalarIT2_EEPKiS8_PKS5_iiSA_S6_PS5_21rocsparse_index_base_b,@function
_ZN9rocsparseL22gebsrmvn_mxn_16_kernelILj90ELj15ELj6E21rocsparse_complex_numIfEEEvi20rocsparse_direction_NS_24const_host_device_scalarIT2_EEPKiS8_PKS5_iiSA_S6_PS5_21rocsparse_index_base_b: ; @_ZN9rocsparseL22gebsrmvn_mxn_16_kernelILj90ELj15ELj6E21rocsparse_complex_numIfEEEvi20rocsparse_direction_NS_24const_host_device_scalarIT2_EEPKiS8_PKS5_iiSA_S6_PS5_21rocsparse_index_base_b
; %bb.0:
	s_clause 0x2
	s_load_b64 s[10:11], s[0:1], 0x48
	s_load_b64 s[4:5], s[0:1], 0x8
	;; [unrolled: 1-line block ×3, first 2 shown]
	s_mov_b32 s8, s15
	s_waitcnt lgkmcnt(0)
	s_bitcmp1_b32 s11, 0
	v_mov_b32_e32 v10, s4
	s_cselect_b32 s6, -1, 0
	s_delay_alu instid0(SALU_CYCLE_1)
	s_and_b32 vcc_lo, exec_lo, s6
	s_xor_b32 s6, s6, -1
	s_cbranch_vccz .LBB91_15
; %bb.1:
	v_cndmask_b32_e64 v1, 0, 1, s6
	v_mov_b32_e32 v11, s5
	s_and_not1_b32 vcc_lo, exec_lo, s6
	s_cbranch_vccz .LBB91_16
.LBB91_2:
	s_delay_alu instid0(VALU_DEP_2)
	v_cmp_ne_u32_e32 vcc_lo, 1, v1
	v_mov_b32_e32 v8, s2
	s_cbranch_vccz .LBB91_17
.LBB91_3:
	v_cmp_ne_u32_e32 vcc_lo, 1, v1
	v_mov_b32_e32 v9, s3
	s_cbranch_vccnz .LBB91_5
.LBB91_4:
	v_dual_mov_b32 v1, s2 :: v_dual_mov_b32 v2, s3
	flat_load_b32 v9, v[1:2] offset:4
.LBB91_5:
	s_waitcnt vmcnt(0) lgkmcnt(0)
	v_cmp_eq_f32_e32 vcc_lo, 0, v10
	v_cmp_eq_f32_e64 s2, 0, v11
	s_delay_alu instid0(VALU_DEP_1)
	s_and_b32 s4, vcc_lo, s2
	s_mov_b32 s2, -1
	s_and_saveexec_b32 s3, s4
; %bb.6:
	v_cmp_neq_f32_e32 vcc_lo, 1.0, v8
	v_cmp_neq_f32_e64 s2, 0, v9
	s_delay_alu instid0(VALU_DEP_1) | instskip(NEXT) | instid1(SALU_CYCLE_1)
	s_or_b32 s2, vcc_lo, s2
	s_or_not1_b32 s2, s2, exec_lo
; %bb.7:
	s_or_b32 exec_lo, exec_lo, s3
	s_and_saveexec_b32 s3, s2
	s_cbranch_execz .LBB91_43
; %bb.8:
	v_mul_u32_u24_e32 v1, 0x2aab, v0
	s_clause 0x1
	s_load_b32 s4, s[0:1], 0x4
	s_load_b64 s[2:3], s[0:1], 0x10
	s_delay_alu instid0(VALU_DEP_1) | instskip(NEXT) | instid1(VALU_DEP_1)
	v_lshrrev_b32_e32 v1, 16, v1
	v_mul_lo_u16 v1, v1, 6
	s_delay_alu instid0(VALU_DEP_1) | instskip(NEXT) | instid1(VALU_DEP_1)
	v_sub_nc_u16 v1, v0, v1
	v_and_b32_e32 v12, 0xffff, v1
	s_waitcnt lgkmcnt(0)
	s_cmp_lg_u32 s4, 1
	v_and_b32_e32 v4, 0xffff, v0
	s_cselect_b32 s11, -1, 0
	v_mov_b32_e32 v3, v12
	s_and_b32 vcc_lo, exec_lo, s11
	s_cbranch_vccnz .LBB91_10
; %bb.9:
	v_mul_u32_u24_e32 v1, 0x1112, v4
	s_delay_alu instid0(VALU_DEP_1) | instskip(NEXT) | instid1(VALU_DEP_1)
	v_lshrrev_b32_e32 v1, 16, v1
	v_mul_lo_u16 v2, v1, 43
	s_delay_alu instid0(VALU_DEP_1) | instskip(NEXT) | instid1(VALU_DEP_1)
	v_lshrrev_b16 v2, 8, v2
	v_mul_lo_u16 v2, v2, 6
	s_delay_alu instid0(VALU_DEP_1) | instskip(NEXT) | instid1(VALU_DEP_1)
	v_sub_nc_u16 v1, v1, v2
	v_and_b32_e32 v3, 0xff, v1
.LBB91_10:
	s_ashr_i32 s9, s8, 31
	v_dual_mov_b32 v2, 0 :: v_dual_mov_b32 v1, 0
	s_lshl_b64 s[4:5], s[8:9], 2
	s_delay_alu instid0(SALU_CYCLE_1)
	s_add_u32 s2, s2, s4
	s_addc_u32 s3, s3, s5
	s_load_b64 s[12:13], s[2:3], 0x0
	s_load_b64 s[2:3], s[0:1], 0x40
	s_waitcnt lgkmcnt(0)
	s_cmp_ge_i32 s12, s13
	s_cbranch_scc1 .LBB91_18
; %bb.11:
	s_clause 0x1
	s_load_b128 s[4:7], s[0:1], 0x18
	s_load_b64 s[0:1], s[0:1], 0x30
	v_mad_u64_u32 v[1:2], null, 0x5a, s12, v[0:1]
	v_mul_u32_u24_e32 v4, 0x2d9, v4
	v_dual_mov_b32 v2, 0 :: v_dual_mov_b32 v5, 0
	s_mul_i32 s9, s10, 0x5a
	s_sub_i32 s12, s12, s10
	s_delay_alu instid0(VALU_DEP_2) | instskip(NEXT) | instid1(VALU_DEP_4)
	v_lshrrev_b32_e32 v13, 16, v4
	v_subrev_nc_u32_e32 v4, s9, v1
	v_mov_b32_e32 v1, v2
	s_sub_i32 s9, s13, s10
	s_set_inst_prefetch_distance 0x1
	s_branch .LBB91_13
	.p2align	6
.LBB91_12:                              ;   in Loop: Header=BB91_13 Depth=1
	s_or_b32 exec_lo, exec_lo, s13
	v_add_nc_u32_e32 v4, 0x5a, v4
	s_add_i32 s12, s12, 1
	s_delay_alu instid0(SALU_CYCLE_1)
	s_cmp_ge_i32 s12, s9
	s_cbranch_scc1 .LBB91_18
.LBB91_13:                              ; =>This Inner Loop Header: Depth=1
	v_add_nc_u32_e32 v6, s12, v13
	s_mov_b32 s13, exec_lo
	s_delay_alu instid0(VALU_DEP_1)
	v_cmpx_gt_i32_e64 s9, v6
	s_cbranch_execz .LBB91_12
; %bb.14:                               ;   in Loop: Header=BB91_13 Depth=1
	v_ashrrev_i32_e32 v7, 31, v6
	s_delay_alu instid0(VALU_DEP_1) | instskip(SKIP_1) | instid1(VALU_DEP_1)
	v_lshlrev_b64 v[6:7], 2, v[6:7]
	s_waitcnt lgkmcnt(0)
	v_add_co_u32 v6, vcc_lo, s4, v6
	s_delay_alu instid0(VALU_DEP_2) | instskip(SKIP_3) | instid1(VALU_DEP_1)
	v_add_co_ci_u32_e32 v7, vcc_lo, s5, v7, vcc_lo
	global_load_b32 v6, v[6:7], off
	s_waitcnt vmcnt(0)
	v_subrev_nc_u32_e32 v14, s10, v6
	v_mad_u64_u32 v[6:7], null, v14, 6, v[3:4]
	v_lshlrev_b64 v[14:15], 3, v[4:5]
	s_delay_alu instid0(VALU_DEP_1) | instskip(NEXT) | instid1(VALU_DEP_3)
	v_add_co_u32 v14, vcc_lo, s6, v14
	v_ashrrev_i32_e32 v7, 31, v6
	s_delay_alu instid0(VALU_DEP_3) | instskip(NEXT) | instid1(VALU_DEP_2)
	v_add_co_ci_u32_e32 v15, vcc_lo, s7, v15, vcc_lo
	v_lshlrev_b64 v[6:7], 3, v[6:7]
	s_delay_alu instid0(VALU_DEP_1) | instskip(NEXT) | instid1(VALU_DEP_2)
	v_add_co_u32 v6, vcc_lo, s0, v6
	v_add_co_ci_u32_e32 v7, vcc_lo, s1, v7, vcc_lo
	global_load_b64 v[14:15], v[14:15], off
	global_load_b64 v[6:7], v[6:7], off
	s_waitcnt vmcnt(0)
	v_fmac_f32_e32 v1, v14, v6
	v_fmac_f32_e32 v2, v15, v6
	s_delay_alu instid0(VALU_DEP_2) | instskip(NEXT) | instid1(VALU_DEP_2)
	v_fma_f32 v1, -v15, v7, v1
	v_fmac_f32_e32 v2, v14, v7
	s_branch .LBB91_12
.LBB91_15:
	v_dual_mov_b32 v1, s4 :: v_dual_mov_b32 v2, s5
	flat_load_b32 v10, v[1:2]
	v_cndmask_b32_e64 v1, 0, 1, s6
	v_mov_b32_e32 v11, s5
	s_and_not1_b32 vcc_lo, exec_lo, s6
	s_cbranch_vccnz .LBB91_2
.LBB91_16:
	v_dual_mov_b32 v2, s4 :: v_dual_mov_b32 v3, s5
	flat_load_b32 v11, v[2:3] offset:4
	v_cmp_ne_u32_e32 vcc_lo, 1, v1
	v_mov_b32_e32 v8, s2
	s_cbranch_vccnz .LBB91_3
.LBB91_17:
	v_dual_mov_b32 v2, s2 :: v_dual_mov_b32 v3, s3
	flat_load_b32 v8, v[2:3]
	v_cmp_ne_u32_e32 vcc_lo, 1, v1
	v_mov_b32_e32 v9, s3
	s_cbranch_vccz .LBB91_4
	s_branch .LBB91_5
.LBB91_18:
	s_set_inst_prefetch_distance 0x2
	v_lshlrev_b32_e32 v5, 3, v0
	s_and_b32 vcc_lo, exec_lo, s11
	ds_store_b64 v5, v[1:2]
	s_waitcnt lgkmcnt(0)
	s_barrier
	buffer_gl0_inv
	s_cbranch_vccz .LBB91_28
; %bb.19:
	v_cmp_gt_u16_e32 vcc_lo, 2, v12
	s_and_saveexec_b32 s0, vcc_lo
	s_cbranch_execz .LBB91_21
; %bb.20:
	ds_load_2addr_b64 v[13:16], v5 offset1:4
	s_waitcnt lgkmcnt(0)
	v_dual_add_f32 v3, v15, v13 :: v_dual_add_f32 v4, v16, v14
	ds_store_b64 v5, v[3:4]
.LBB91_21:
	s_or_b32 exec_lo, exec_lo, s0
	s_waitcnt lgkmcnt(0)
	s_barrier
	buffer_gl0_inv
	s_and_saveexec_b32 s0, vcc_lo
	s_cbranch_execz .LBB91_23
; %bb.22:
	ds_load_2addr_b64 v[13:16], v5 offset1:2
	s_waitcnt lgkmcnt(0)
	v_dual_add_f32 v3, v15, v13 :: v_dual_add_f32 v4, v16, v14
	ds_store_b64 v5, v[3:4]
.LBB91_23:
	s_or_b32 exec_lo, exec_lo, s0
	s_delay_alu instid0(SALU_CYCLE_1)
	s_mov_b32 s0, exec_lo
	s_waitcnt lgkmcnt(0)
	s_barrier
	buffer_gl0_inv
	v_cmpx_eq_u16_e32 0, v12
	s_cbranch_execz .LBB91_25
; %bb.24:
	ds_load_2addr_b64 v[12:15], v5 offset1:1
	s_waitcnt lgkmcnt(0)
	v_dual_add_f32 v3, v14, v12 :: v_dual_add_f32 v4, v15, v13
	ds_store_b64 v5, v[3:4]
.LBB91_25:
	s_or_b32 exec_lo, exec_lo, s0
	v_dual_mov_b32 v4, v2 :: v_dual_mov_b32 v3, v1
	s_mov_b32 s0, exec_lo
	s_waitcnt lgkmcnt(0)
	s_barrier
	buffer_gl0_inv
	v_cmpx_gt_u32_e32 15, v0
	s_cbranch_execz .LBB91_27
; %bb.26:
	v_mad_u32_u24 v3, v0, 40, v5
	ds_load_b64 v[3:4], v3
.LBB91_27:
	s_or_b32 exec_lo, exec_lo, s0
	s_branch .LBB91_38
.LBB91_28:
                                        ; implicit-def: $vgpr4
	s_cbranch_execz .LBB91_38
; %bb.29:
	v_cmp_gt_u32_e32 vcc_lo, 30, v0
	s_and_saveexec_b32 s0, vcc_lo
	s_cbranch_execz .LBB91_31
; %bb.30:
	ds_load_2addr_b64 v[12:15], v5 offset1:60
	s_waitcnt lgkmcnt(0)
	v_dual_add_f32 v3, v14, v12 :: v_dual_add_f32 v4, v15, v13
	ds_store_b64 v5, v[3:4]
.LBB91_31:
	s_or_b32 exec_lo, exec_lo, s0
	s_waitcnt lgkmcnt(0)
	s_barrier
	buffer_gl0_inv
	s_and_saveexec_b32 s0, vcc_lo
	s_cbranch_execz .LBB91_33
; %bb.32:
	ds_load_2addr_b64 v[12:15], v5 offset1:30
	s_waitcnt lgkmcnt(0)
	v_dual_add_f32 v3, v14, v12 :: v_dual_add_f32 v4, v15, v13
	ds_store_b64 v5, v[3:4]
.LBB91_33:
	s_or_b32 exec_lo, exec_lo, s0
	s_delay_alu instid0(SALU_CYCLE_1)
	s_mov_b32 s0, exec_lo
	s_waitcnt lgkmcnt(0)
	buffer_gl0_inv
	v_cmpx_lt_u32_e32 14, v0
	s_xor_b32 s0, exec_lo, s0
	s_cbranch_execz .LBB91_35
; %bb.34:
	buffer_gl0_inv
                                        ; implicit-def: $vgpr5
.LBB91_35:
	s_and_not1_saveexec_b32 s0, s0
	s_cbranch_execz .LBB91_37
; %bb.36:
	ds_load_2addr_b64 v[1:4], v5 offset1:15
	s_waitcnt lgkmcnt(0)
	v_dual_add_f32 v1, v3, v1 :: v_dual_add_f32 v2, v4, v2
	ds_store_b64 v5, v[1:2]
	s_waitcnt lgkmcnt(0)
	buffer_gl0_inv
	ds_load_b64 v[1:2], v5
.LBB91_37:
	s_or_b32 exec_lo, exec_lo, s0
	s_waitcnt lgkmcnt(0)
	v_dual_mov_b32 v4, v2 :: v_dual_mov_b32 v3, v1
.LBB91_38:
	v_cmp_gt_u32_e32 vcc_lo, 15, v0
	s_and_b32 exec_lo, exec_lo, vcc_lo
	s_cbranch_execz .LBB91_43
; %bb.39:
	s_waitcnt lgkmcnt(0)
	v_mul_f32_e64 v1, v4, -v11
	v_mul_f32_e32 v2, v4, v10
	v_cmp_eq_f32_e32 vcc_lo, 0, v8
	v_cmp_eq_f32_e64 s0, 0, v9
	s_delay_alu instid0(VALU_DEP_4) | instskip(NEXT) | instid1(VALU_DEP_4)
	v_fmac_f32_e32 v1, v10, v3
	v_fmac_f32_e32 v2, v11, v3
	s_delay_alu instid0(VALU_DEP_3) | instskip(NEXT) | instid1(SALU_CYCLE_1)
	s_and_b32 s0, vcc_lo, s0
	s_and_saveexec_b32 s1, s0
	s_delay_alu instid0(SALU_CYCLE_1)
	s_xor_b32 s0, exec_lo, s1
	s_cbranch_execz .LBB91_41
; %bb.40:
	v_mad_u64_u32 v[3:4], null, s8, 15, v[0:1]
	v_mov_b32_e32 v4, 0
                                        ; implicit-def: $vgpr0
                                        ; implicit-def: $vgpr8
                                        ; implicit-def: $vgpr9
	s_delay_alu instid0(VALU_DEP_1) | instskip(NEXT) | instid1(VALU_DEP_1)
	v_lshlrev_b64 v[3:4], 3, v[3:4]
	v_add_co_u32 v3, vcc_lo, s2, v3
	s_delay_alu instid0(VALU_DEP_2)
	v_add_co_ci_u32_e32 v4, vcc_lo, s3, v4, vcc_lo
	global_store_b64 v[3:4], v[1:2], off
                                        ; implicit-def: $vgpr1
.LBB91_41:
	s_and_not1_saveexec_b32 s0, s0
	s_cbranch_execz .LBB91_43
; %bb.42:
	v_mad_u64_u32 v[3:4], null, s8, 15, v[0:1]
	v_mov_b32_e32 v4, 0
	s_delay_alu instid0(VALU_DEP_1) | instskip(NEXT) | instid1(VALU_DEP_1)
	v_lshlrev_b64 v[3:4], 3, v[3:4]
	v_add_co_u32 v3, vcc_lo, s2, v3
	s_delay_alu instid0(VALU_DEP_2) | instskip(SKIP_4) | instid1(VALU_DEP_2)
	v_add_co_ci_u32_e32 v4, vcc_lo, s3, v4, vcc_lo
	global_load_b64 v[5:6], v[3:4], off
	s_waitcnt vmcnt(0)
	v_fmac_f32_e32 v1, v8, v5
	v_fmac_f32_e32 v2, v9, v5
	v_fma_f32 v1, -v9, v6, v1
	s_delay_alu instid0(VALU_DEP_2)
	v_fmac_f32_e32 v2, v8, v6
	global_store_b64 v[3:4], v[1:2], off
.LBB91_43:
	s_nop 0
	s_sendmsg sendmsg(MSG_DEALLOC_VGPRS)
	s_endpgm
	.section	.rodata,"a",@progbits
	.p2align	6, 0x0
	.amdhsa_kernel _ZN9rocsparseL22gebsrmvn_mxn_16_kernelILj90ELj15ELj6E21rocsparse_complex_numIfEEEvi20rocsparse_direction_NS_24const_host_device_scalarIT2_EEPKiS8_PKS5_iiSA_S6_PS5_21rocsparse_index_base_b
		.amdhsa_group_segment_fixed_size 720
		.amdhsa_private_segment_fixed_size 0
		.amdhsa_kernarg_size 80
		.amdhsa_user_sgpr_count 15
		.amdhsa_user_sgpr_dispatch_ptr 0
		.amdhsa_user_sgpr_queue_ptr 0
		.amdhsa_user_sgpr_kernarg_segment_ptr 1
		.amdhsa_user_sgpr_dispatch_id 0
		.amdhsa_user_sgpr_private_segment_size 0
		.amdhsa_wavefront_size32 1
		.amdhsa_uses_dynamic_stack 0
		.amdhsa_enable_private_segment 0
		.amdhsa_system_sgpr_workgroup_id_x 1
		.amdhsa_system_sgpr_workgroup_id_y 0
		.amdhsa_system_sgpr_workgroup_id_z 0
		.amdhsa_system_sgpr_workgroup_info 0
		.amdhsa_system_vgpr_workitem_id 0
		.amdhsa_next_free_vgpr 17
		.amdhsa_next_free_sgpr 16
		.amdhsa_reserve_vcc 1
		.amdhsa_float_round_mode_32 0
		.amdhsa_float_round_mode_16_64 0
		.amdhsa_float_denorm_mode_32 3
		.amdhsa_float_denorm_mode_16_64 3
		.amdhsa_dx10_clamp 1
		.amdhsa_ieee_mode 1
		.amdhsa_fp16_overflow 0
		.amdhsa_workgroup_processor_mode 1
		.amdhsa_memory_ordered 1
		.amdhsa_forward_progress 0
		.amdhsa_shared_vgpr_count 0
		.amdhsa_exception_fp_ieee_invalid_op 0
		.amdhsa_exception_fp_denorm_src 0
		.amdhsa_exception_fp_ieee_div_zero 0
		.amdhsa_exception_fp_ieee_overflow 0
		.amdhsa_exception_fp_ieee_underflow 0
		.amdhsa_exception_fp_ieee_inexact 0
		.amdhsa_exception_int_div_zero 0
	.end_amdhsa_kernel
	.section	.text._ZN9rocsparseL22gebsrmvn_mxn_16_kernelILj90ELj15ELj6E21rocsparse_complex_numIfEEEvi20rocsparse_direction_NS_24const_host_device_scalarIT2_EEPKiS8_PKS5_iiSA_S6_PS5_21rocsparse_index_base_b,"axG",@progbits,_ZN9rocsparseL22gebsrmvn_mxn_16_kernelILj90ELj15ELj6E21rocsparse_complex_numIfEEEvi20rocsparse_direction_NS_24const_host_device_scalarIT2_EEPKiS8_PKS5_iiSA_S6_PS5_21rocsparse_index_base_b,comdat
.Lfunc_end91:
	.size	_ZN9rocsparseL22gebsrmvn_mxn_16_kernelILj90ELj15ELj6E21rocsparse_complex_numIfEEEvi20rocsparse_direction_NS_24const_host_device_scalarIT2_EEPKiS8_PKS5_iiSA_S6_PS5_21rocsparse_index_base_b, .Lfunc_end91-_ZN9rocsparseL22gebsrmvn_mxn_16_kernelILj90ELj15ELj6E21rocsparse_complex_numIfEEEvi20rocsparse_direction_NS_24const_host_device_scalarIT2_EEPKiS8_PKS5_iiSA_S6_PS5_21rocsparse_index_base_b
                                        ; -- End function
	.section	.AMDGPU.csdata,"",@progbits
; Kernel info:
; codeLenInByte = 1520
; NumSgprs: 18
; NumVgprs: 17
; ScratchSize: 0
; MemoryBound: 0
; FloatMode: 240
; IeeeMode: 1
; LDSByteSize: 720 bytes/workgroup (compile time only)
; SGPRBlocks: 2
; VGPRBlocks: 2
; NumSGPRsForWavesPerEU: 18
; NumVGPRsForWavesPerEU: 17
; Occupancy: 16
; WaveLimiterHint : 1
; COMPUTE_PGM_RSRC2:SCRATCH_EN: 0
; COMPUTE_PGM_RSRC2:USER_SGPR: 15
; COMPUTE_PGM_RSRC2:TRAP_HANDLER: 0
; COMPUTE_PGM_RSRC2:TGID_X_EN: 1
; COMPUTE_PGM_RSRC2:TGID_Y_EN: 0
; COMPUTE_PGM_RSRC2:TGID_Z_EN: 0
; COMPUTE_PGM_RSRC2:TIDIG_COMP_CNT: 0
	.section	.text._ZN9rocsparseL22gebsrmvn_mxn_16_kernelILj105ELj15ELj7E21rocsparse_complex_numIfEEEvi20rocsparse_direction_NS_24const_host_device_scalarIT2_EEPKiS8_PKS5_iiSA_S6_PS5_21rocsparse_index_base_b,"axG",@progbits,_ZN9rocsparseL22gebsrmvn_mxn_16_kernelILj105ELj15ELj7E21rocsparse_complex_numIfEEEvi20rocsparse_direction_NS_24const_host_device_scalarIT2_EEPKiS8_PKS5_iiSA_S6_PS5_21rocsparse_index_base_b,comdat
	.globl	_ZN9rocsparseL22gebsrmvn_mxn_16_kernelILj105ELj15ELj7E21rocsparse_complex_numIfEEEvi20rocsparse_direction_NS_24const_host_device_scalarIT2_EEPKiS8_PKS5_iiSA_S6_PS5_21rocsparse_index_base_b ; -- Begin function _ZN9rocsparseL22gebsrmvn_mxn_16_kernelILj105ELj15ELj7E21rocsparse_complex_numIfEEEvi20rocsparse_direction_NS_24const_host_device_scalarIT2_EEPKiS8_PKS5_iiSA_S6_PS5_21rocsparse_index_base_b
	.p2align	8
	.type	_ZN9rocsparseL22gebsrmvn_mxn_16_kernelILj105ELj15ELj7E21rocsparse_complex_numIfEEEvi20rocsparse_direction_NS_24const_host_device_scalarIT2_EEPKiS8_PKS5_iiSA_S6_PS5_21rocsparse_index_base_b,@function
_ZN9rocsparseL22gebsrmvn_mxn_16_kernelILj105ELj15ELj7E21rocsparse_complex_numIfEEEvi20rocsparse_direction_NS_24const_host_device_scalarIT2_EEPKiS8_PKS5_iiSA_S6_PS5_21rocsparse_index_base_b: ; @_ZN9rocsparseL22gebsrmvn_mxn_16_kernelILj105ELj15ELj7E21rocsparse_complex_numIfEEEvi20rocsparse_direction_NS_24const_host_device_scalarIT2_EEPKiS8_PKS5_iiSA_S6_PS5_21rocsparse_index_base_b
; %bb.0:
	s_clause 0x2
	s_load_b64 s[10:11], s[0:1], 0x48
	s_load_b64 s[4:5], s[0:1], 0x8
	;; [unrolled: 1-line block ×3, first 2 shown]
	s_mov_b32 s8, s15
	s_waitcnt lgkmcnt(0)
	s_bitcmp1_b32 s11, 0
	v_mov_b32_e32 v10, s4
	s_cselect_b32 s6, -1, 0
	s_delay_alu instid0(SALU_CYCLE_1)
	s_and_b32 vcc_lo, exec_lo, s6
	s_xor_b32 s6, s6, -1
	s_cbranch_vccz .LBB92_15
; %bb.1:
	v_cndmask_b32_e64 v1, 0, 1, s6
	v_mov_b32_e32 v11, s5
	s_and_not1_b32 vcc_lo, exec_lo, s6
	s_cbranch_vccz .LBB92_16
.LBB92_2:
	s_delay_alu instid0(VALU_DEP_2)
	v_cmp_ne_u32_e32 vcc_lo, 1, v1
	v_mov_b32_e32 v8, s2
	s_cbranch_vccz .LBB92_17
.LBB92_3:
	v_cmp_ne_u32_e32 vcc_lo, 1, v1
	v_mov_b32_e32 v9, s3
	s_cbranch_vccnz .LBB92_5
.LBB92_4:
	v_dual_mov_b32 v1, s2 :: v_dual_mov_b32 v2, s3
	flat_load_b32 v9, v[1:2] offset:4
.LBB92_5:
	s_waitcnt vmcnt(0) lgkmcnt(0)
	v_cmp_eq_f32_e32 vcc_lo, 0, v10
	v_cmp_eq_f32_e64 s2, 0, v11
	s_delay_alu instid0(VALU_DEP_1)
	s_and_b32 s4, vcc_lo, s2
	s_mov_b32 s2, -1
	s_and_saveexec_b32 s3, s4
; %bb.6:
	v_cmp_neq_f32_e32 vcc_lo, 1.0, v8
	v_cmp_neq_f32_e64 s2, 0, v9
	s_delay_alu instid0(VALU_DEP_1) | instskip(NEXT) | instid1(SALU_CYCLE_1)
	s_or_b32 s2, vcc_lo, s2
	s_or_not1_b32 s2, s2, exec_lo
; %bb.7:
	s_or_b32 exec_lo, exec_lo, s3
	s_and_saveexec_b32 s3, s2
	s_cbranch_execz .LBB92_43
; %bb.8:
	v_mul_u32_u24_e32 v1, 0x2493, v0
	s_clause 0x1
	s_load_b32 s4, s[0:1], 0x4
	s_load_b64 s[2:3], s[0:1], 0x10
	s_delay_alu instid0(VALU_DEP_1) | instskip(NEXT) | instid1(VALU_DEP_1)
	v_lshrrev_b32_e32 v1, 16, v1
	v_mul_lo_u16 v1, v1, 7
	s_delay_alu instid0(VALU_DEP_1) | instskip(NEXT) | instid1(VALU_DEP_1)
	v_sub_nc_u16 v1, v0, v1
	v_and_b32_e32 v12, 0xffff, v1
	s_waitcnt lgkmcnt(0)
	s_cmp_lg_u32 s4, 1
	v_and_b32_e32 v4, 0xffff, v0
	s_cselect_b32 s11, -1, 0
	v_mov_b32_e32 v3, v12
	s_and_b32 vcc_lo, exec_lo, s11
	s_cbranch_vccnz .LBB92_10
; %bb.9:
	v_mul_u32_u24_e32 v1, 0x1112, v4
	s_delay_alu instid0(VALU_DEP_1) | instskip(NEXT) | instid1(VALU_DEP_1)
	v_lshrrev_b32_e32 v1, 16, v1
	v_mul_lo_u16 v2, v1, 37
	s_delay_alu instid0(VALU_DEP_1) | instskip(NEXT) | instid1(VALU_DEP_1)
	v_lshrrev_b16 v2, 8, v2
	v_mul_lo_u16 v2, v2, 7
	s_delay_alu instid0(VALU_DEP_1) | instskip(NEXT) | instid1(VALU_DEP_1)
	v_sub_nc_u16 v1, v1, v2
	v_and_b32_e32 v3, 0xff, v1
.LBB92_10:
	s_ashr_i32 s9, s8, 31
	v_dual_mov_b32 v2, 0 :: v_dual_mov_b32 v1, 0
	s_lshl_b64 s[4:5], s[8:9], 2
	s_delay_alu instid0(SALU_CYCLE_1)
	s_add_u32 s2, s2, s4
	s_addc_u32 s3, s3, s5
	s_load_b64 s[12:13], s[2:3], 0x0
	s_load_b64 s[2:3], s[0:1], 0x40
	s_waitcnt lgkmcnt(0)
	s_cmp_ge_i32 s12, s13
	s_cbranch_scc1 .LBB92_18
; %bb.11:
	s_clause 0x1
	s_load_b128 s[4:7], s[0:1], 0x18
	s_load_b64 s[0:1], s[0:1], 0x30
	v_mad_u64_u32 v[1:2], null, 0x69, s12, v[0:1]
	v_mul_u32_u24_e32 v4, 0x271, v4
	v_dual_mov_b32 v2, 0 :: v_dual_mov_b32 v5, 0
	s_mul_i32 s9, s10, 0x69
	s_sub_i32 s12, s12, s10
	s_delay_alu instid0(VALU_DEP_2) | instskip(NEXT) | instid1(VALU_DEP_4)
	v_lshrrev_b32_e32 v13, 16, v4
	v_subrev_nc_u32_e32 v4, s9, v1
	v_mov_b32_e32 v1, v2
	s_sub_i32 s9, s13, s10
	s_set_inst_prefetch_distance 0x1
	s_branch .LBB92_13
	.p2align	6
.LBB92_12:                              ;   in Loop: Header=BB92_13 Depth=1
	s_or_b32 exec_lo, exec_lo, s13
	v_add_nc_u32_e32 v4, 0x69, v4
	s_add_i32 s12, s12, 1
	s_delay_alu instid0(SALU_CYCLE_1)
	s_cmp_ge_i32 s12, s9
	s_cbranch_scc1 .LBB92_18
.LBB92_13:                              ; =>This Inner Loop Header: Depth=1
	v_add_nc_u32_e32 v6, s12, v13
	s_mov_b32 s13, exec_lo
	s_delay_alu instid0(VALU_DEP_1)
	v_cmpx_gt_i32_e64 s9, v6
	s_cbranch_execz .LBB92_12
; %bb.14:                               ;   in Loop: Header=BB92_13 Depth=1
	v_ashrrev_i32_e32 v7, 31, v6
	s_delay_alu instid0(VALU_DEP_1) | instskip(SKIP_1) | instid1(VALU_DEP_1)
	v_lshlrev_b64 v[6:7], 2, v[6:7]
	s_waitcnt lgkmcnt(0)
	v_add_co_u32 v6, vcc_lo, s4, v6
	s_delay_alu instid0(VALU_DEP_2) | instskip(SKIP_3) | instid1(VALU_DEP_1)
	v_add_co_ci_u32_e32 v7, vcc_lo, s5, v7, vcc_lo
	global_load_b32 v6, v[6:7], off
	s_waitcnt vmcnt(0)
	v_subrev_nc_u32_e32 v14, s10, v6
	v_mad_u64_u32 v[6:7], null, v14, 7, v[3:4]
	v_lshlrev_b64 v[14:15], 3, v[4:5]
	s_delay_alu instid0(VALU_DEP_1) | instskip(NEXT) | instid1(VALU_DEP_3)
	v_add_co_u32 v14, vcc_lo, s6, v14
	v_ashrrev_i32_e32 v7, 31, v6
	s_delay_alu instid0(VALU_DEP_3) | instskip(NEXT) | instid1(VALU_DEP_2)
	v_add_co_ci_u32_e32 v15, vcc_lo, s7, v15, vcc_lo
	v_lshlrev_b64 v[6:7], 3, v[6:7]
	s_delay_alu instid0(VALU_DEP_1) | instskip(NEXT) | instid1(VALU_DEP_2)
	v_add_co_u32 v6, vcc_lo, s0, v6
	v_add_co_ci_u32_e32 v7, vcc_lo, s1, v7, vcc_lo
	global_load_b64 v[14:15], v[14:15], off
	global_load_b64 v[6:7], v[6:7], off
	s_waitcnt vmcnt(0)
	v_fmac_f32_e32 v1, v14, v6
	v_fmac_f32_e32 v2, v15, v6
	s_delay_alu instid0(VALU_DEP_2) | instskip(NEXT) | instid1(VALU_DEP_2)
	v_fma_f32 v1, -v15, v7, v1
	v_fmac_f32_e32 v2, v14, v7
	s_branch .LBB92_12
.LBB92_15:
	v_dual_mov_b32 v1, s4 :: v_dual_mov_b32 v2, s5
	flat_load_b32 v10, v[1:2]
	v_cndmask_b32_e64 v1, 0, 1, s6
	v_mov_b32_e32 v11, s5
	s_and_not1_b32 vcc_lo, exec_lo, s6
	s_cbranch_vccnz .LBB92_2
.LBB92_16:
	v_dual_mov_b32 v2, s4 :: v_dual_mov_b32 v3, s5
	flat_load_b32 v11, v[2:3] offset:4
	v_cmp_ne_u32_e32 vcc_lo, 1, v1
	v_mov_b32_e32 v8, s2
	s_cbranch_vccnz .LBB92_3
.LBB92_17:
	v_dual_mov_b32 v2, s2 :: v_dual_mov_b32 v3, s3
	flat_load_b32 v8, v[2:3]
	v_cmp_ne_u32_e32 vcc_lo, 1, v1
	v_mov_b32_e32 v9, s3
	s_cbranch_vccz .LBB92_4
	s_branch .LBB92_5
.LBB92_18:
	s_set_inst_prefetch_distance 0x2
	v_lshlrev_b32_e32 v5, 3, v0
	s_and_b32 vcc_lo, exec_lo, s11
	ds_store_b64 v5, v[1:2]
	s_waitcnt lgkmcnt(0)
	s_barrier
	buffer_gl0_inv
	s_cbranch_vccz .LBB92_28
; %bb.19:
	s_mov_b32 s0, exec_lo
	v_cmpx_gt_u16_e32 3, v12
	s_cbranch_execz .LBB92_21
; %bb.20:
	ds_load_2addr_b64 v[13:16], v5 offset1:4
	s_waitcnt lgkmcnt(0)
	v_dual_add_f32 v3, v15, v13 :: v_dual_add_f32 v4, v16, v14
	ds_store_b64 v5, v[3:4]
.LBB92_21:
	s_or_b32 exec_lo, exec_lo, s0
	s_delay_alu instid0(SALU_CYCLE_1)
	s_mov_b32 s0, exec_lo
	s_waitcnt lgkmcnt(0)
	s_barrier
	buffer_gl0_inv
	v_cmpx_gt_u16_e32 2, v12
	s_cbranch_execz .LBB92_23
; %bb.22:
	ds_load_2addr_b64 v[13:16], v5 offset1:2
	s_waitcnt lgkmcnt(0)
	v_dual_add_f32 v3, v15, v13 :: v_dual_add_f32 v4, v16, v14
	ds_store_b64 v5, v[3:4]
.LBB92_23:
	s_or_b32 exec_lo, exec_lo, s0
	s_delay_alu instid0(SALU_CYCLE_1)
	s_mov_b32 s0, exec_lo
	s_waitcnt lgkmcnt(0)
	s_barrier
	buffer_gl0_inv
	v_cmpx_eq_u16_e32 0, v12
	s_cbranch_execz .LBB92_25
; %bb.24:
	ds_load_2addr_b64 v[12:15], v5 offset1:1
	s_waitcnt lgkmcnt(0)
	v_dual_add_f32 v3, v14, v12 :: v_dual_add_f32 v4, v15, v13
	ds_store_b64 v5, v[3:4]
.LBB92_25:
	s_or_b32 exec_lo, exec_lo, s0
	v_dual_mov_b32 v4, v2 :: v_dual_mov_b32 v3, v1
	s_mov_b32 s0, exec_lo
	s_waitcnt lgkmcnt(0)
	s_barrier
	buffer_gl0_inv
	v_cmpx_gt_u32_e32 15, v0
	s_cbranch_execz .LBB92_27
; %bb.26:
	v_mad_u32_u24 v3, v0, 48, v5
	ds_load_b64 v[3:4], v3
.LBB92_27:
	s_or_b32 exec_lo, exec_lo, s0
	s_branch .LBB92_38
.LBB92_28:
                                        ; implicit-def: $vgpr4
	s_cbranch_execz .LBB92_38
; %bb.29:
	s_mov_b32 s0, exec_lo
	v_cmpx_gt_u32_e32 45, v0
	s_cbranch_execz .LBB92_31
; %bb.30:
	ds_load_2addr_b64 v[12:15], v5 offset1:60
	s_waitcnt lgkmcnt(0)
	v_dual_add_f32 v3, v14, v12 :: v_dual_add_f32 v4, v15, v13
	ds_store_b64 v5, v[3:4]
.LBB92_31:
	s_or_b32 exec_lo, exec_lo, s0
	s_delay_alu instid0(SALU_CYCLE_1)
	s_mov_b32 s0, exec_lo
	s_waitcnt lgkmcnt(0)
	s_barrier
	buffer_gl0_inv
	v_cmpx_gt_u32_e32 30, v0
	s_cbranch_execz .LBB92_33
; %bb.32:
	ds_load_2addr_b64 v[12:15], v5 offset1:30
	s_waitcnt lgkmcnt(0)
	v_dual_add_f32 v3, v14, v12 :: v_dual_add_f32 v4, v15, v13
	ds_store_b64 v5, v[3:4]
.LBB92_33:
	s_or_b32 exec_lo, exec_lo, s0
	s_delay_alu instid0(SALU_CYCLE_1)
	s_mov_b32 s0, exec_lo
	s_waitcnt lgkmcnt(0)
	buffer_gl0_inv
	v_cmpx_lt_u32_e32 14, v0
	s_xor_b32 s0, exec_lo, s0
	s_cbranch_execz .LBB92_35
; %bb.34:
	buffer_gl0_inv
                                        ; implicit-def: $vgpr5
.LBB92_35:
	s_and_not1_saveexec_b32 s0, s0
	s_cbranch_execz .LBB92_37
; %bb.36:
	ds_load_2addr_b64 v[1:4], v5 offset1:15
	s_waitcnt lgkmcnt(0)
	v_dual_add_f32 v1, v3, v1 :: v_dual_add_f32 v2, v4, v2
	ds_store_b64 v5, v[1:2]
	s_waitcnt lgkmcnt(0)
	buffer_gl0_inv
	ds_load_b64 v[1:2], v5
.LBB92_37:
	s_or_b32 exec_lo, exec_lo, s0
	s_waitcnt lgkmcnt(0)
	v_dual_mov_b32 v4, v2 :: v_dual_mov_b32 v3, v1
.LBB92_38:
	v_cmp_gt_u32_e32 vcc_lo, 15, v0
	s_and_b32 exec_lo, exec_lo, vcc_lo
	s_cbranch_execz .LBB92_43
; %bb.39:
	s_waitcnt lgkmcnt(0)
	v_mul_f32_e64 v1, v4, -v11
	v_mul_f32_e32 v2, v4, v10
	v_cmp_eq_f32_e32 vcc_lo, 0, v8
	v_cmp_eq_f32_e64 s0, 0, v9
	s_delay_alu instid0(VALU_DEP_4) | instskip(NEXT) | instid1(VALU_DEP_4)
	v_fmac_f32_e32 v1, v10, v3
	v_fmac_f32_e32 v2, v11, v3
	s_delay_alu instid0(VALU_DEP_3) | instskip(NEXT) | instid1(SALU_CYCLE_1)
	s_and_b32 s0, vcc_lo, s0
	s_and_saveexec_b32 s1, s0
	s_delay_alu instid0(SALU_CYCLE_1)
	s_xor_b32 s0, exec_lo, s1
	s_cbranch_execz .LBB92_41
; %bb.40:
	v_mad_u64_u32 v[3:4], null, s8, 15, v[0:1]
	v_mov_b32_e32 v4, 0
                                        ; implicit-def: $vgpr0
                                        ; implicit-def: $vgpr8
                                        ; implicit-def: $vgpr9
	s_delay_alu instid0(VALU_DEP_1) | instskip(NEXT) | instid1(VALU_DEP_1)
	v_lshlrev_b64 v[3:4], 3, v[3:4]
	v_add_co_u32 v3, vcc_lo, s2, v3
	s_delay_alu instid0(VALU_DEP_2)
	v_add_co_ci_u32_e32 v4, vcc_lo, s3, v4, vcc_lo
	global_store_b64 v[3:4], v[1:2], off
                                        ; implicit-def: $vgpr1
.LBB92_41:
	s_and_not1_saveexec_b32 s0, s0
	s_cbranch_execz .LBB92_43
; %bb.42:
	v_mad_u64_u32 v[3:4], null, s8, 15, v[0:1]
	v_mov_b32_e32 v4, 0
	s_delay_alu instid0(VALU_DEP_1) | instskip(NEXT) | instid1(VALU_DEP_1)
	v_lshlrev_b64 v[3:4], 3, v[3:4]
	v_add_co_u32 v3, vcc_lo, s2, v3
	s_delay_alu instid0(VALU_DEP_2) | instskip(SKIP_4) | instid1(VALU_DEP_2)
	v_add_co_ci_u32_e32 v4, vcc_lo, s3, v4, vcc_lo
	global_load_b64 v[5:6], v[3:4], off
	s_waitcnt vmcnt(0)
	v_fmac_f32_e32 v1, v8, v5
	v_fmac_f32_e32 v2, v9, v5
	v_fma_f32 v1, -v9, v6, v1
	s_delay_alu instid0(VALU_DEP_2)
	v_fmac_f32_e32 v2, v8, v6
	global_store_b64 v[3:4], v[1:2], off
.LBB92_43:
	s_nop 0
	s_sendmsg sendmsg(MSG_DEALLOC_VGPRS)
	s_endpgm
	.section	.rodata,"a",@progbits
	.p2align	6, 0x0
	.amdhsa_kernel _ZN9rocsparseL22gebsrmvn_mxn_16_kernelILj105ELj15ELj7E21rocsparse_complex_numIfEEEvi20rocsparse_direction_NS_24const_host_device_scalarIT2_EEPKiS8_PKS5_iiSA_S6_PS5_21rocsparse_index_base_b
		.amdhsa_group_segment_fixed_size 840
		.amdhsa_private_segment_fixed_size 0
		.amdhsa_kernarg_size 80
		.amdhsa_user_sgpr_count 15
		.amdhsa_user_sgpr_dispatch_ptr 0
		.amdhsa_user_sgpr_queue_ptr 0
		.amdhsa_user_sgpr_kernarg_segment_ptr 1
		.amdhsa_user_sgpr_dispatch_id 0
		.amdhsa_user_sgpr_private_segment_size 0
		.amdhsa_wavefront_size32 1
		.amdhsa_uses_dynamic_stack 0
		.amdhsa_enable_private_segment 0
		.amdhsa_system_sgpr_workgroup_id_x 1
		.amdhsa_system_sgpr_workgroup_id_y 0
		.amdhsa_system_sgpr_workgroup_id_z 0
		.amdhsa_system_sgpr_workgroup_info 0
		.amdhsa_system_vgpr_workitem_id 0
		.amdhsa_next_free_vgpr 17
		.amdhsa_next_free_sgpr 16
		.amdhsa_reserve_vcc 1
		.amdhsa_float_round_mode_32 0
		.amdhsa_float_round_mode_16_64 0
		.amdhsa_float_denorm_mode_32 3
		.amdhsa_float_denorm_mode_16_64 3
		.amdhsa_dx10_clamp 1
		.amdhsa_ieee_mode 1
		.amdhsa_fp16_overflow 0
		.amdhsa_workgroup_processor_mode 1
		.amdhsa_memory_ordered 1
		.amdhsa_forward_progress 0
		.amdhsa_shared_vgpr_count 0
		.amdhsa_exception_fp_ieee_invalid_op 0
		.amdhsa_exception_fp_denorm_src 0
		.amdhsa_exception_fp_ieee_div_zero 0
		.amdhsa_exception_fp_ieee_overflow 0
		.amdhsa_exception_fp_ieee_underflow 0
		.amdhsa_exception_fp_ieee_inexact 0
		.amdhsa_exception_int_div_zero 0
	.end_amdhsa_kernel
	.section	.text._ZN9rocsparseL22gebsrmvn_mxn_16_kernelILj105ELj15ELj7E21rocsparse_complex_numIfEEEvi20rocsparse_direction_NS_24const_host_device_scalarIT2_EEPKiS8_PKS5_iiSA_S6_PS5_21rocsparse_index_base_b,"axG",@progbits,_ZN9rocsparseL22gebsrmvn_mxn_16_kernelILj105ELj15ELj7E21rocsparse_complex_numIfEEEvi20rocsparse_direction_NS_24const_host_device_scalarIT2_EEPKiS8_PKS5_iiSA_S6_PS5_21rocsparse_index_base_b,comdat
.Lfunc_end92:
	.size	_ZN9rocsparseL22gebsrmvn_mxn_16_kernelILj105ELj15ELj7E21rocsparse_complex_numIfEEEvi20rocsparse_direction_NS_24const_host_device_scalarIT2_EEPKiS8_PKS5_iiSA_S6_PS5_21rocsparse_index_base_b, .Lfunc_end92-_ZN9rocsparseL22gebsrmvn_mxn_16_kernelILj105ELj15ELj7E21rocsparse_complex_numIfEEEvi20rocsparse_direction_NS_24const_host_device_scalarIT2_EEPKiS8_PKS5_iiSA_S6_PS5_21rocsparse_index_base_b
                                        ; -- End function
	.section	.AMDGPU.csdata,"",@progbits
; Kernel info:
; codeLenInByte = 1536
; NumSgprs: 18
; NumVgprs: 17
; ScratchSize: 0
; MemoryBound: 0
; FloatMode: 240
; IeeeMode: 1
; LDSByteSize: 840 bytes/workgroup (compile time only)
; SGPRBlocks: 2
; VGPRBlocks: 2
; NumSGPRsForWavesPerEU: 18
; NumVGPRsForWavesPerEU: 17
; Occupancy: 16
; WaveLimiterHint : 1
; COMPUTE_PGM_RSRC2:SCRATCH_EN: 0
; COMPUTE_PGM_RSRC2:USER_SGPR: 15
; COMPUTE_PGM_RSRC2:TRAP_HANDLER: 0
; COMPUTE_PGM_RSRC2:TGID_X_EN: 1
; COMPUTE_PGM_RSRC2:TGID_Y_EN: 0
; COMPUTE_PGM_RSRC2:TGID_Z_EN: 0
; COMPUTE_PGM_RSRC2:TIDIG_COMP_CNT: 0
	.section	.text._ZN9rocsparseL22gebsrmvn_mxn_16_kernelILj120ELj15ELj8E21rocsparse_complex_numIfEEEvi20rocsparse_direction_NS_24const_host_device_scalarIT2_EEPKiS8_PKS5_iiSA_S6_PS5_21rocsparse_index_base_b,"axG",@progbits,_ZN9rocsparseL22gebsrmvn_mxn_16_kernelILj120ELj15ELj8E21rocsparse_complex_numIfEEEvi20rocsparse_direction_NS_24const_host_device_scalarIT2_EEPKiS8_PKS5_iiSA_S6_PS5_21rocsparse_index_base_b,comdat
	.globl	_ZN9rocsparseL22gebsrmvn_mxn_16_kernelILj120ELj15ELj8E21rocsparse_complex_numIfEEEvi20rocsparse_direction_NS_24const_host_device_scalarIT2_EEPKiS8_PKS5_iiSA_S6_PS5_21rocsparse_index_base_b ; -- Begin function _ZN9rocsparseL22gebsrmvn_mxn_16_kernelILj120ELj15ELj8E21rocsparse_complex_numIfEEEvi20rocsparse_direction_NS_24const_host_device_scalarIT2_EEPKiS8_PKS5_iiSA_S6_PS5_21rocsparse_index_base_b
	.p2align	8
	.type	_ZN9rocsparseL22gebsrmvn_mxn_16_kernelILj120ELj15ELj8E21rocsparse_complex_numIfEEEvi20rocsparse_direction_NS_24const_host_device_scalarIT2_EEPKiS8_PKS5_iiSA_S6_PS5_21rocsparse_index_base_b,@function
_ZN9rocsparseL22gebsrmvn_mxn_16_kernelILj120ELj15ELj8E21rocsparse_complex_numIfEEEvi20rocsparse_direction_NS_24const_host_device_scalarIT2_EEPKiS8_PKS5_iiSA_S6_PS5_21rocsparse_index_base_b: ; @_ZN9rocsparseL22gebsrmvn_mxn_16_kernelILj120ELj15ELj8E21rocsparse_complex_numIfEEEvi20rocsparse_direction_NS_24const_host_device_scalarIT2_EEPKiS8_PKS5_iiSA_S6_PS5_21rocsparse_index_base_b
; %bb.0:
	s_clause 0x2
	s_load_b64 s[10:11], s[0:1], 0x48
	s_load_b64 s[4:5], s[0:1], 0x8
	;; [unrolled: 1-line block ×3, first 2 shown]
	s_mov_b32 s8, s15
	s_waitcnt lgkmcnt(0)
	s_bitcmp1_b32 s11, 0
	v_mov_b32_e32 v9, s4
	s_cselect_b32 s6, -1, 0
	s_delay_alu instid0(SALU_CYCLE_1)
	s_and_b32 vcc_lo, exec_lo, s6
	s_xor_b32 s6, s6, -1
	s_cbranch_vccz .LBB93_15
; %bb.1:
	v_cndmask_b32_e64 v1, 0, 1, s6
	v_mov_b32_e32 v10, s5
	s_and_not1_b32 vcc_lo, exec_lo, s6
	s_cbranch_vccz .LBB93_16
.LBB93_2:
	s_delay_alu instid0(VALU_DEP_2)
	v_cmp_ne_u32_e32 vcc_lo, 1, v1
	v_mov_b32_e32 v7, s2
	s_cbranch_vccz .LBB93_17
.LBB93_3:
	v_cmp_ne_u32_e32 vcc_lo, 1, v1
	v_mov_b32_e32 v8, s3
	s_cbranch_vccnz .LBB93_5
.LBB93_4:
	v_dual_mov_b32 v1, s2 :: v_dual_mov_b32 v2, s3
	flat_load_b32 v8, v[1:2] offset:4
.LBB93_5:
	s_waitcnt vmcnt(0) lgkmcnt(0)
	v_cmp_eq_f32_e32 vcc_lo, 0, v9
	v_cmp_eq_f32_e64 s2, 0, v10
	s_delay_alu instid0(VALU_DEP_1)
	s_and_b32 s4, vcc_lo, s2
	s_mov_b32 s2, -1
	s_and_saveexec_b32 s3, s4
; %bb.6:
	v_cmp_neq_f32_e32 vcc_lo, 1.0, v7
	v_cmp_neq_f32_e64 s2, 0, v8
	s_delay_alu instid0(VALU_DEP_1) | instskip(NEXT) | instid1(SALU_CYCLE_1)
	s_or_b32 s2, vcc_lo, s2
	s_or_not1_b32 s2, s2, exec_lo
; %bb.7:
	s_or_b32 exec_lo, exec_lo, s3
	s_and_saveexec_b32 s3, s2
	s_cbranch_execz .LBB93_43
; %bb.8:
	s_clause 0x1
	s_load_b32 s4, s[0:1], 0x4
	s_load_b64 s[2:3], s[0:1], 0x10
	v_and_b32_e32 v11, 7, v0
	s_delay_alu instid0(VALU_DEP_1) | instskip(SKIP_3) | instid1(SALU_CYCLE_1)
	v_mov_b32_e32 v12, v11
	s_waitcnt lgkmcnt(0)
	s_cmp_lg_u32 s4, 1
	s_cselect_b32 s11, -1, 0
	s_and_b32 vcc_lo, exec_lo, s11
	s_cbranch_vccnz .LBB93_10
; %bb.9:
	v_mul_u32_u24_e32 v1, 0x1112, v0
	s_delay_alu instid0(VALU_DEP_1)
	v_bfe_u32 v12, v1, 16, 3
.LBB93_10:
	s_ashr_i32 s9, s8, 31
	v_dual_mov_b32 v2, 0 :: v_dual_mov_b32 v1, 0
	s_lshl_b64 s[4:5], s[8:9], 2
	s_delay_alu instid0(SALU_CYCLE_1)
	s_add_u32 s2, s2, s4
	s_addc_u32 s3, s3, s5
	s_load_b64 s[12:13], s[2:3], 0x0
	s_load_b64 s[2:3], s[0:1], 0x40
	s_waitcnt lgkmcnt(0)
	s_cmp_ge_i32 s12, s13
	s_cbranch_scc1 .LBB93_18
; %bb.11:
	s_clause 0x1
	s_load_b128 s[4:7], s[0:1], 0x18
	s_load_b64 s[0:1], s[0:1], 0x30
	v_mad_u64_u32 v[1:2], null, 0x78, s12, v[0:1]
	v_mul_u32_u24_e32 v3, 0x223, v0
	v_mov_b32_e32 v2, 0
	s_mul_i32 s9, s10, 0x78
	v_mov_b32_e32 v4, 0
	s_sub_i32 s12, s12, s10
	v_lshrrev_b32_e32 v13, 16, v3
	v_subrev_nc_u32_e32 v3, s9, v1
	v_mov_b32_e32 v1, v2
	s_sub_i32 s9, s13, s10
	s_set_inst_prefetch_distance 0x1
	s_branch .LBB93_13
	.p2align	6
.LBB93_12:                              ;   in Loop: Header=BB93_13 Depth=1
	s_or_b32 exec_lo, exec_lo, s13
	v_add_nc_u32_e32 v3, 0x78, v3
	s_add_i32 s12, s12, 1
	s_delay_alu instid0(SALU_CYCLE_1)
	s_cmp_ge_i32 s12, s9
	s_cbranch_scc1 .LBB93_18
.LBB93_13:                              ; =>This Inner Loop Header: Depth=1
	v_add_nc_u32_e32 v5, s12, v13
	s_mov_b32 s13, exec_lo
	s_delay_alu instid0(VALU_DEP_1)
	v_cmpx_gt_i32_e64 s9, v5
	s_cbranch_execz .LBB93_12
; %bb.14:                               ;   in Loop: Header=BB93_13 Depth=1
	v_ashrrev_i32_e32 v6, 31, v5
	v_lshlrev_b64 v[14:15], 3, v[3:4]
	s_delay_alu instid0(VALU_DEP_2) | instskip(SKIP_1) | instid1(VALU_DEP_1)
	v_lshlrev_b64 v[5:6], 2, v[5:6]
	s_waitcnt lgkmcnt(0)
	v_add_co_u32 v5, vcc_lo, s4, v5
	s_delay_alu instid0(VALU_DEP_2) | instskip(NEXT) | instid1(VALU_DEP_4)
	v_add_co_ci_u32_e32 v6, vcc_lo, s5, v6, vcc_lo
	v_add_co_u32 v14, vcc_lo, s6, v14
	v_add_co_ci_u32_e32 v15, vcc_lo, s7, v15, vcc_lo
	global_load_b32 v5, v[5:6], off
	s_waitcnt vmcnt(0)
	v_subrev_nc_u32_e32 v5, s10, v5
	s_delay_alu instid0(VALU_DEP_1) | instskip(NEXT) | instid1(VALU_DEP_1)
	v_lshl_or_b32 v5, v5, 3, v12
	v_ashrrev_i32_e32 v6, 31, v5
	s_delay_alu instid0(VALU_DEP_1) | instskip(NEXT) | instid1(VALU_DEP_1)
	v_lshlrev_b64 v[5:6], 3, v[5:6]
	v_add_co_u32 v5, vcc_lo, s0, v5
	s_delay_alu instid0(VALU_DEP_2)
	v_add_co_ci_u32_e32 v6, vcc_lo, s1, v6, vcc_lo
	global_load_b64 v[14:15], v[14:15], off
	global_load_b64 v[5:6], v[5:6], off
	s_waitcnt vmcnt(0)
	v_fmac_f32_e32 v1, v14, v5
	v_fmac_f32_e32 v2, v15, v5
	s_delay_alu instid0(VALU_DEP_2) | instskip(NEXT) | instid1(VALU_DEP_2)
	v_fma_f32 v1, -v15, v6, v1
	v_fmac_f32_e32 v2, v14, v6
	s_branch .LBB93_12
.LBB93_15:
	v_dual_mov_b32 v1, s4 :: v_dual_mov_b32 v2, s5
	flat_load_b32 v9, v[1:2]
	v_cndmask_b32_e64 v1, 0, 1, s6
	v_mov_b32_e32 v10, s5
	s_and_not1_b32 vcc_lo, exec_lo, s6
	s_cbranch_vccnz .LBB93_2
.LBB93_16:
	v_dual_mov_b32 v2, s4 :: v_dual_mov_b32 v3, s5
	flat_load_b32 v10, v[2:3] offset:4
	v_cmp_ne_u32_e32 vcc_lo, 1, v1
	v_mov_b32_e32 v7, s2
	s_cbranch_vccnz .LBB93_3
.LBB93_17:
	v_dual_mov_b32 v2, s2 :: v_dual_mov_b32 v3, s3
	flat_load_b32 v7, v[2:3]
	v_cmp_ne_u32_e32 vcc_lo, 1, v1
	v_mov_b32_e32 v8, s3
	s_cbranch_vccz .LBB93_4
	s_branch .LBB93_5
.LBB93_18:
	s_set_inst_prefetch_distance 0x2
	v_lshlrev_b32_e32 v5, 3, v0
	s_and_b32 vcc_lo, exec_lo, s11
	ds_store_b64 v5, v[1:2]
	s_waitcnt lgkmcnt(0)
	s_barrier
	buffer_gl0_inv
	s_cbranch_vccz .LBB93_28
; %bb.19:
	s_mov_b32 s0, exec_lo
	v_cmpx_gt_u32_e32 4, v11
	s_cbranch_execz .LBB93_21
; %bb.20:
	ds_load_2addr_b64 v[12:15], v5 offset1:4
	s_waitcnt lgkmcnt(0)
	v_dual_add_f32 v3, v14, v12 :: v_dual_add_f32 v4, v15, v13
	ds_store_b64 v5, v[3:4]
.LBB93_21:
	s_or_b32 exec_lo, exec_lo, s0
	s_delay_alu instid0(SALU_CYCLE_1)
	s_mov_b32 s0, exec_lo
	s_waitcnt lgkmcnt(0)
	s_barrier
	buffer_gl0_inv
	v_cmpx_gt_u32_e32 2, v11
	s_cbranch_execz .LBB93_23
; %bb.22:
	ds_load_2addr_b64 v[12:15], v5 offset1:2
	s_waitcnt lgkmcnt(0)
	v_dual_add_f32 v3, v14, v12 :: v_dual_add_f32 v4, v15, v13
	ds_store_b64 v5, v[3:4]
.LBB93_23:
	s_or_b32 exec_lo, exec_lo, s0
	s_delay_alu instid0(SALU_CYCLE_1)
	s_mov_b32 s0, exec_lo
	s_waitcnt lgkmcnt(0)
	s_barrier
	buffer_gl0_inv
	v_cmpx_eq_u32_e32 0, v11
	s_cbranch_execz .LBB93_25
; %bb.24:
	ds_load_2addr_b64 v[11:14], v5 offset1:1
	s_waitcnt lgkmcnt(0)
	v_dual_add_f32 v3, v13, v11 :: v_dual_add_f32 v4, v14, v12
	ds_store_b64 v5, v[3:4]
.LBB93_25:
	s_or_b32 exec_lo, exec_lo, s0
	v_dual_mov_b32 v4, v2 :: v_dual_mov_b32 v3, v1
	s_mov_b32 s0, exec_lo
	s_waitcnt lgkmcnt(0)
	s_barrier
	buffer_gl0_inv
	v_cmpx_gt_u32_e32 15, v0
	s_cbranch_execz .LBB93_27
; %bb.26:
	v_mad_u32_u24 v3, v0, 56, v5
	ds_load_b64 v[3:4], v3
.LBB93_27:
	s_or_b32 exec_lo, exec_lo, s0
	s_branch .LBB93_38
.LBB93_28:
                                        ; implicit-def: $vgpr4
	s_cbranch_execz .LBB93_38
; %bb.29:
	s_mov_b32 s0, exec_lo
	v_cmpx_gt_u32_e32 60, v0
	s_cbranch_execz .LBB93_31
; %bb.30:
	ds_load_2addr_b64 v[11:14], v5 offset1:60
	s_waitcnt lgkmcnt(0)
	v_dual_add_f32 v3, v13, v11 :: v_dual_add_f32 v4, v14, v12
	ds_store_b64 v5, v[3:4]
.LBB93_31:
	s_or_b32 exec_lo, exec_lo, s0
	s_delay_alu instid0(SALU_CYCLE_1)
	s_mov_b32 s0, exec_lo
	s_waitcnt lgkmcnt(0)
	s_barrier
	buffer_gl0_inv
	v_cmpx_gt_u32_e32 30, v0
	s_cbranch_execz .LBB93_33
; %bb.32:
	ds_load_2addr_b64 v[11:14], v5 offset1:30
	s_waitcnt lgkmcnt(0)
	v_dual_add_f32 v3, v13, v11 :: v_dual_add_f32 v4, v14, v12
	ds_store_b64 v5, v[3:4]
.LBB93_33:
	s_or_b32 exec_lo, exec_lo, s0
	s_delay_alu instid0(SALU_CYCLE_1)
	s_mov_b32 s0, exec_lo
	s_waitcnt lgkmcnt(0)
	buffer_gl0_inv
	v_cmpx_lt_u32_e32 14, v0
	s_xor_b32 s0, exec_lo, s0
	s_cbranch_execz .LBB93_35
; %bb.34:
	buffer_gl0_inv
                                        ; implicit-def: $vgpr5
.LBB93_35:
	s_and_not1_saveexec_b32 s0, s0
	s_cbranch_execz .LBB93_37
; %bb.36:
	ds_load_2addr_b64 v[1:4], v5 offset1:15
	s_waitcnt lgkmcnt(0)
	v_dual_add_f32 v1, v3, v1 :: v_dual_add_f32 v2, v4, v2
	ds_store_b64 v5, v[1:2]
	s_waitcnt lgkmcnt(0)
	buffer_gl0_inv
	ds_load_b64 v[1:2], v5
.LBB93_37:
	s_or_b32 exec_lo, exec_lo, s0
	s_waitcnt lgkmcnt(0)
	v_dual_mov_b32 v4, v2 :: v_dual_mov_b32 v3, v1
.LBB93_38:
	v_cmp_gt_u32_e32 vcc_lo, 15, v0
	s_and_b32 exec_lo, exec_lo, vcc_lo
	s_cbranch_execz .LBB93_43
; %bb.39:
	s_waitcnt lgkmcnt(0)
	v_mul_f32_e64 v1, v4, -v10
	v_mul_f32_e32 v2, v4, v9
	v_cmp_eq_f32_e32 vcc_lo, 0, v7
	v_cmp_eq_f32_e64 s0, 0, v8
	s_delay_alu instid0(VALU_DEP_4) | instskip(NEXT) | instid1(VALU_DEP_4)
	v_fmac_f32_e32 v1, v9, v3
	v_fmac_f32_e32 v2, v10, v3
	s_delay_alu instid0(VALU_DEP_3) | instskip(NEXT) | instid1(SALU_CYCLE_1)
	s_and_b32 s0, vcc_lo, s0
	s_and_saveexec_b32 s1, s0
	s_delay_alu instid0(SALU_CYCLE_1)
	s_xor_b32 s0, exec_lo, s1
	s_cbranch_execz .LBB93_41
; %bb.40:
	v_mad_u64_u32 v[3:4], null, s8, 15, v[0:1]
	v_mov_b32_e32 v4, 0
                                        ; implicit-def: $vgpr0
                                        ; implicit-def: $vgpr7
                                        ; implicit-def: $vgpr8
	s_delay_alu instid0(VALU_DEP_1) | instskip(NEXT) | instid1(VALU_DEP_1)
	v_lshlrev_b64 v[3:4], 3, v[3:4]
	v_add_co_u32 v3, vcc_lo, s2, v3
	s_delay_alu instid0(VALU_DEP_2)
	v_add_co_ci_u32_e32 v4, vcc_lo, s3, v4, vcc_lo
	global_store_b64 v[3:4], v[1:2], off
                                        ; implicit-def: $vgpr1
.LBB93_41:
	s_and_not1_saveexec_b32 s0, s0
	s_cbranch_execz .LBB93_43
; %bb.42:
	v_mad_u64_u32 v[3:4], null, s8, 15, v[0:1]
	v_mov_b32_e32 v4, 0
	s_delay_alu instid0(VALU_DEP_1) | instskip(NEXT) | instid1(VALU_DEP_1)
	v_lshlrev_b64 v[3:4], 3, v[3:4]
	v_add_co_u32 v3, vcc_lo, s2, v3
	s_delay_alu instid0(VALU_DEP_2) | instskip(SKIP_4) | instid1(VALU_DEP_2)
	v_add_co_ci_u32_e32 v4, vcc_lo, s3, v4, vcc_lo
	global_load_b64 v[5:6], v[3:4], off
	s_waitcnt vmcnt(0)
	v_fmac_f32_e32 v1, v7, v5
	v_fmac_f32_e32 v2, v8, v5
	v_fma_f32 v1, -v8, v6, v1
	s_delay_alu instid0(VALU_DEP_2)
	v_fmac_f32_e32 v2, v7, v6
	global_store_b64 v[3:4], v[1:2], off
.LBB93_43:
	s_nop 0
	s_sendmsg sendmsg(MSG_DEALLOC_VGPRS)
	s_endpgm
	.section	.rodata,"a",@progbits
	.p2align	6, 0x0
	.amdhsa_kernel _ZN9rocsparseL22gebsrmvn_mxn_16_kernelILj120ELj15ELj8E21rocsparse_complex_numIfEEEvi20rocsparse_direction_NS_24const_host_device_scalarIT2_EEPKiS8_PKS5_iiSA_S6_PS5_21rocsparse_index_base_b
		.amdhsa_group_segment_fixed_size 960
		.amdhsa_private_segment_fixed_size 0
		.amdhsa_kernarg_size 80
		.amdhsa_user_sgpr_count 15
		.amdhsa_user_sgpr_dispatch_ptr 0
		.amdhsa_user_sgpr_queue_ptr 0
		.amdhsa_user_sgpr_kernarg_segment_ptr 1
		.amdhsa_user_sgpr_dispatch_id 0
		.amdhsa_user_sgpr_private_segment_size 0
		.amdhsa_wavefront_size32 1
		.amdhsa_uses_dynamic_stack 0
		.amdhsa_enable_private_segment 0
		.amdhsa_system_sgpr_workgroup_id_x 1
		.amdhsa_system_sgpr_workgroup_id_y 0
		.amdhsa_system_sgpr_workgroup_id_z 0
		.amdhsa_system_sgpr_workgroup_info 0
		.amdhsa_system_vgpr_workitem_id 0
		.amdhsa_next_free_vgpr 16
		.amdhsa_next_free_sgpr 16
		.amdhsa_reserve_vcc 1
		.amdhsa_float_round_mode_32 0
		.amdhsa_float_round_mode_16_64 0
		.amdhsa_float_denorm_mode_32 3
		.amdhsa_float_denorm_mode_16_64 3
		.amdhsa_dx10_clamp 1
		.amdhsa_ieee_mode 1
		.amdhsa_fp16_overflow 0
		.amdhsa_workgroup_processor_mode 1
		.amdhsa_memory_ordered 1
		.amdhsa_forward_progress 0
		.amdhsa_shared_vgpr_count 0
		.amdhsa_exception_fp_ieee_invalid_op 0
		.amdhsa_exception_fp_denorm_src 0
		.amdhsa_exception_fp_ieee_div_zero 0
		.amdhsa_exception_fp_ieee_overflow 0
		.amdhsa_exception_fp_ieee_underflow 0
		.amdhsa_exception_fp_ieee_inexact 0
		.amdhsa_exception_int_div_zero 0
	.end_amdhsa_kernel
	.section	.text._ZN9rocsparseL22gebsrmvn_mxn_16_kernelILj120ELj15ELj8E21rocsparse_complex_numIfEEEvi20rocsparse_direction_NS_24const_host_device_scalarIT2_EEPKiS8_PKS5_iiSA_S6_PS5_21rocsparse_index_base_b,"axG",@progbits,_ZN9rocsparseL22gebsrmvn_mxn_16_kernelILj120ELj15ELj8E21rocsparse_complex_numIfEEEvi20rocsparse_direction_NS_24const_host_device_scalarIT2_EEPKiS8_PKS5_iiSA_S6_PS5_21rocsparse_index_base_b,comdat
.Lfunc_end93:
	.size	_ZN9rocsparseL22gebsrmvn_mxn_16_kernelILj120ELj15ELj8E21rocsparse_complex_numIfEEEvi20rocsparse_direction_NS_24const_host_device_scalarIT2_EEPKiS8_PKS5_iiSA_S6_PS5_21rocsparse_index_base_b, .Lfunc_end93-_ZN9rocsparseL22gebsrmvn_mxn_16_kernelILj120ELj15ELj8E21rocsparse_complex_numIfEEEvi20rocsparse_direction_NS_24const_host_device_scalarIT2_EEPKiS8_PKS5_iiSA_S6_PS5_21rocsparse_index_base_b
                                        ; -- End function
	.section	.AMDGPU.csdata,"",@progbits
; Kernel info:
; codeLenInByte = 1444
; NumSgprs: 18
; NumVgprs: 16
; ScratchSize: 0
; MemoryBound: 0
; FloatMode: 240
; IeeeMode: 1
; LDSByteSize: 960 bytes/workgroup (compile time only)
; SGPRBlocks: 2
; VGPRBlocks: 1
; NumSGPRsForWavesPerEU: 18
; NumVGPRsForWavesPerEU: 16
; Occupancy: 16
; WaveLimiterHint : 1
; COMPUTE_PGM_RSRC2:SCRATCH_EN: 0
; COMPUTE_PGM_RSRC2:USER_SGPR: 15
; COMPUTE_PGM_RSRC2:TRAP_HANDLER: 0
; COMPUTE_PGM_RSRC2:TGID_X_EN: 1
; COMPUTE_PGM_RSRC2:TGID_Y_EN: 0
; COMPUTE_PGM_RSRC2:TGID_Z_EN: 0
; COMPUTE_PGM_RSRC2:TIDIG_COMP_CNT: 0
	.section	.text._ZN9rocsparseL22gebsrmvn_mxn_16_kernelILj64ELj16ELj1E21rocsparse_complex_numIfEEEvi20rocsparse_direction_NS_24const_host_device_scalarIT2_EEPKiS8_PKS5_iiSA_S6_PS5_21rocsparse_index_base_b,"axG",@progbits,_ZN9rocsparseL22gebsrmvn_mxn_16_kernelILj64ELj16ELj1E21rocsparse_complex_numIfEEEvi20rocsparse_direction_NS_24const_host_device_scalarIT2_EEPKiS8_PKS5_iiSA_S6_PS5_21rocsparse_index_base_b,comdat
	.globl	_ZN9rocsparseL22gebsrmvn_mxn_16_kernelILj64ELj16ELj1E21rocsparse_complex_numIfEEEvi20rocsparse_direction_NS_24const_host_device_scalarIT2_EEPKiS8_PKS5_iiSA_S6_PS5_21rocsparse_index_base_b ; -- Begin function _ZN9rocsparseL22gebsrmvn_mxn_16_kernelILj64ELj16ELj1E21rocsparse_complex_numIfEEEvi20rocsparse_direction_NS_24const_host_device_scalarIT2_EEPKiS8_PKS5_iiSA_S6_PS5_21rocsparse_index_base_b
	.p2align	8
	.type	_ZN9rocsparseL22gebsrmvn_mxn_16_kernelILj64ELj16ELj1E21rocsparse_complex_numIfEEEvi20rocsparse_direction_NS_24const_host_device_scalarIT2_EEPKiS8_PKS5_iiSA_S6_PS5_21rocsparse_index_base_b,@function
_ZN9rocsparseL22gebsrmvn_mxn_16_kernelILj64ELj16ELj1E21rocsparse_complex_numIfEEEvi20rocsparse_direction_NS_24const_host_device_scalarIT2_EEPKiS8_PKS5_iiSA_S6_PS5_21rocsparse_index_base_b: ; @_ZN9rocsparseL22gebsrmvn_mxn_16_kernelILj64ELj16ELj1E21rocsparse_complex_numIfEEEvi20rocsparse_direction_NS_24const_host_device_scalarIT2_EEPKiS8_PKS5_iiSA_S6_PS5_21rocsparse_index_base_b
; %bb.0:
	s_clause 0x2
	s_load_b64 s[10:11], s[0:1], 0x48
	s_load_b64 s[4:5], s[0:1], 0x8
	;; [unrolled: 1-line block ×3, first 2 shown]
	s_mov_b32 s8, s15
	s_waitcnt lgkmcnt(0)
	s_bitcmp1_b32 s11, 0
	v_mov_b32_e32 v9, s4
	s_cselect_b32 s6, -1, 0
	s_delay_alu instid0(SALU_CYCLE_1)
	s_and_b32 vcc_lo, exec_lo, s6
	s_xor_b32 s6, s6, -1
	s_cbranch_vccz .LBB94_10
; %bb.1:
	v_cndmask_b32_e64 v1, 0, 1, s6
	v_mov_b32_e32 v10, s5
	s_and_not1_b32 vcc_lo, exec_lo, s6
	s_cbranch_vccz .LBB94_11
.LBB94_2:
	s_delay_alu instid0(VALU_DEP_2)
	v_cmp_ne_u32_e32 vcc_lo, 1, v1
	v_mov_b32_e32 v7, s2
	s_cbranch_vccz .LBB94_12
.LBB94_3:
	v_cmp_ne_u32_e32 vcc_lo, 1, v1
	v_mov_b32_e32 v8, s3
	s_cbranch_vccnz .LBB94_5
.LBB94_4:
	v_dual_mov_b32 v1, s2 :: v_dual_mov_b32 v2, s3
	flat_load_b32 v8, v[1:2] offset:4
.LBB94_5:
	s_waitcnt vmcnt(0) lgkmcnt(0)
	v_cmp_eq_f32_e32 vcc_lo, 0, v9
	v_cmp_eq_f32_e64 s2, 0, v10
	s_delay_alu instid0(VALU_DEP_1)
	s_and_b32 s4, vcc_lo, s2
	s_mov_b32 s2, -1
	s_and_saveexec_b32 s3, s4
; %bb.6:
	v_cmp_neq_f32_e32 vcc_lo, 1.0, v7
	v_cmp_neq_f32_e64 s2, 0, v8
	s_delay_alu instid0(VALU_DEP_1) | instskip(NEXT) | instid1(SALU_CYCLE_1)
	s_or_b32 s2, vcc_lo, s2
	s_or_not1_b32 s2, s2, exec_lo
; %bb.7:
	s_or_b32 exec_lo, exec_lo, s3
	s_and_saveexec_b32 s3, s2
	s_cbranch_execz .LBB94_30
; %bb.8:
	s_load_b64 s[2:3], s[0:1], 0x10
	s_ashr_i32 s9, s8, 31
	s_delay_alu instid0(SALU_CYCLE_1)
	s_lshl_b64 s[4:5], s[8:9], 2
	s_waitcnt lgkmcnt(0)
	s_add_u32 s2, s2, s4
	s_addc_u32 s3, s3, s5
	s_load_b64 s[12:13], s[2:3], 0x0
	s_waitcnt lgkmcnt(0)
	s_cmp_lt_i32 s12, s13
	s_cbranch_scc1 .LBB94_13
; %bb.9:
	s_mov_b32 s4, 0
	s_mov_b32 s5, 0
	s_branch .LBB94_14
.LBB94_10:
	v_dual_mov_b32 v1, s4 :: v_dual_mov_b32 v2, s5
	flat_load_b32 v9, v[1:2]
	v_cndmask_b32_e64 v1, 0, 1, s6
	v_mov_b32_e32 v10, s5
	s_and_not1_b32 vcc_lo, exec_lo, s6
	s_cbranch_vccnz .LBB94_2
.LBB94_11:
	v_dual_mov_b32 v2, s4 :: v_dual_mov_b32 v3, s5
	flat_load_b32 v10, v[2:3] offset:4
	v_cmp_ne_u32_e32 vcc_lo, 1, v1
	v_mov_b32_e32 v7, s2
	s_cbranch_vccnz .LBB94_3
.LBB94_12:
	v_dual_mov_b32 v2, s2 :: v_dual_mov_b32 v3, s3
	flat_load_b32 v7, v[2:3]
	v_cmp_ne_u32_e32 vcc_lo, 1, v1
	v_mov_b32_e32 v8, s3
	s_cbranch_vccz .LBB94_4
	s_branch .LBB94_5
.LBB94_13:
	s_mov_b32 s4, -1
                                        ; implicit-def: $sgpr5
.LBB94_14:
	s_load_b64 s[2:3], s[0:1], 0x40
	v_dual_mov_b32 v2, s5 :: v_dual_mov_b32 v1, s5
	s_and_not1_b32 vcc_lo, exec_lo, s4
	s_cbranch_vccnz .LBB94_19
; %bb.15:
	s_clause 0x1
	s_load_b128 s[4:7], s[0:1], 0x18
	s_load_b64 s[0:1], s[0:1], 0x30
	v_lshl_add_u32 v1, s12, 4, v0
	v_mov_b32_e32 v2, 0
	s_lshl_b32 s9, s10, 4
	v_lshrrev_b32_e32 v11, 4, v0
	v_mov_b32_e32 v4, 0
	v_subrev_nc_u32_e32 v3, s9, v1
	v_mov_b32_e32 v1, v2
	s_sub_i32 s9, s13, s10
	s_sub_i32 s11, s12, s10
	s_set_inst_prefetch_distance 0x1
	s_branch .LBB94_17
	.p2align	6
.LBB94_16:                              ;   in Loop: Header=BB94_17 Depth=1
	s_or_b32 exec_lo, exec_lo, s12
	v_add_nc_u32_e32 v3, 64, v3
	s_add_i32 s11, s11, 4
	s_delay_alu instid0(SALU_CYCLE_1)
	s_cmp_ge_i32 s11, s9
	s_cbranch_scc1 .LBB94_19
.LBB94_17:                              ; =>This Inner Loop Header: Depth=1
	v_add_nc_u32_e32 v5, s11, v11
	s_mov_b32 s12, exec_lo
	s_delay_alu instid0(VALU_DEP_1)
	v_cmpx_gt_i32_e64 s9, v5
	s_cbranch_execz .LBB94_16
; %bb.18:                               ;   in Loop: Header=BB94_17 Depth=1
	v_ashrrev_i32_e32 v6, 31, v5
	v_lshlrev_b64 v[12:13], 3, v[3:4]
	s_delay_alu instid0(VALU_DEP_2) | instskip(SKIP_1) | instid1(VALU_DEP_1)
	v_lshlrev_b64 v[5:6], 2, v[5:6]
	s_waitcnt lgkmcnt(0)
	v_add_co_u32 v5, vcc_lo, s4, v5
	s_delay_alu instid0(VALU_DEP_2) | instskip(NEXT) | instid1(VALU_DEP_4)
	v_add_co_ci_u32_e32 v6, vcc_lo, s5, v6, vcc_lo
	v_add_co_u32 v12, vcc_lo, s6, v12
	v_add_co_ci_u32_e32 v13, vcc_lo, s7, v13, vcc_lo
	global_load_b32 v5, v[5:6], off
	s_waitcnt vmcnt(0)
	v_subrev_nc_u32_e32 v5, s10, v5
	s_delay_alu instid0(VALU_DEP_1) | instskip(NEXT) | instid1(VALU_DEP_1)
	v_ashrrev_i32_e32 v6, 31, v5
	v_lshlrev_b64 v[5:6], 3, v[5:6]
	s_delay_alu instid0(VALU_DEP_1) | instskip(NEXT) | instid1(VALU_DEP_2)
	v_add_co_u32 v5, vcc_lo, s0, v5
	v_add_co_ci_u32_e32 v6, vcc_lo, s1, v6, vcc_lo
	global_load_b64 v[12:13], v[12:13], off
	global_load_b64 v[5:6], v[5:6], off
	s_waitcnt vmcnt(0)
	v_fmac_f32_e32 v1, v12, v5
	v_fmac_f32_e32 v2, v13, v5
	s_delay_alu instid0(VALU_DEP_2) | instskip(NEXT) | instid1(VALU_DEP_2)
	v_fma_f32 v1, -v13, v6, v1
	v_fmac_f32_e32 v2, v12, v6
	s_branch .LBB94_16
.LBB94_19:
	s_set_inst_prefetch_distance 0x2
	v_lshlrev_b32_e32 v3, 3, v0
	s_waitcnt lgkmcnt(0)
	s_mov_b32 s0, exec_lo
	ds_store_b64 v3, v[1:2]
	s_waitcnt lgkmcnt(0)
	s_barrier
	buffer_gl0_inv
	v_cmpx_gt_u32_e32 32, v0
	s_cbranch_execz .LBB94_21
; %bb.20:
	ds_load_2addr_b64 v[11:14], v3 offset1:32
	s_waitcnt lgkmcnt(0)
	v_dual_add_f32 v4, v13, v11 :: v_dual_add_f32 v5, v14, v12
	ds_store_b64 v3, v[4:5]
.LBB94_21:
	s_or_b32 exec_lo, exec_lo, s0
	v_cmp_gt_u32_e32 vcc_lo, 16, v0
	s_waitcnt lgkmcnt(0)
	s_barrier
	buffer_gl0_inv
	s_and_saveexec_b32 s0, vcc_lo
	s_cbranch_execz .LBB94_23
; %bb.22:
	ds_load_2addr_b64 v[11:14], v3 offset1:16
	s_waitcnt lgkmcnt(0)
	v_dual_add_f32 v4, v13, v11 :: v_dual_add_f32 v5, v14, v12
	ds_store_b64 v3, v[4:5]
.LBB94_23:
	s_or_b32 exec_lo, exec_lo, s0
	s_waitcnt lgkmcnt(0)
	s_barrier
	buffer_gl0_inv
	s_and_saveexec_b32 s0, vcc_lo
	s_cbranch_execz .LBB94_25
; %bb.24:
	ds_load_b64 v[1:2], v3
.LBB94_25:
	s_or_b32 exec_lo, exec_lo, s0
	s_delay_alu instid0(SALU_CYCLE_1)
	s_and_b32 exec_lo, exec_lo, vcc_lo
	s_cbranch_execz .LBB94_30
; %bb.26:
	s_waitcnt lgkmcnt(0)
	v_mul_f32_e64 v3, v2, -v10
	v_mul_f32_e32 v4, v2, v9
	v_cmp_eq_f32_e32 vcc_lo, 0, v7
	v_cmp_eq_f32_e64 s0, 0, v8
	v_lshl_or_b32 v0, s8, 4, v0
	v_fmac_f32_e32 v3, v9, v1
	v_fmac_f32_e32 v4, v10, v1
	s_delay_alu instid0(VALU_DEP_4) | instskip(NEXT) | instid1(SALU_CYCLE_1)
	s_and_b32 s0, vcc_lo, s0
	s_and_saveexec_b32 s1, s0
	s_delay_alu instid0(SALU_CYCLE_1)
	s_xor_b32 s0, exec_lo, s1
	s_cbranch_execz .LBB94_28
; %bb.27:
	v_mov_b32_e32 v1, 0
                                        ; implicit-def: $vgpr7
                                        ; implicit-def: $vgpr8
	s_delay_alu instid0(VALU_DEP_1) | instskip(NEXT) | instid1(VALU_DEP_1)
	v_lshlrev_b64 v[0:1], 3, v[0:1]
	v_add_co_u32 v0, vcc_lo, s2, v0
	s_delay_alu instid0(VALU_DEP_2)
	v_add_co_ci_u32_e32 v1, vcc_lo, s3, v1, vcc_lo
	global_store_b64 v[0:1], v[3:4], off
                                        ; implicit-def: $vgpr0
                                        ; implicit-def: $vgpr3
.LBB94_28:
	s_and_not1_saveexec_b32 s0, s0
	s_cbranch_execz .LBB94_30
; %bb.29:
	v_mov_b32_e32 v1, 0
	s_delay_alu instid0(VALU_DEP_1) | instskip(NEXT) | instid1(VALU_DEP_1)
	v_lshlrev_b64 v[0:1], 3, v[0:1]
	v_add_co_u32 v0, vcc_lo, s2, v0
	s_delay_alu instid0(VALU_DEP_2) | instskip(SKIP_4) | instid1(VALU_DEP_2)
	v_add_co_ci_u32_e32 v1, vcc_lo, s3, v1, vcc_lo
	global_load_b64 v[5:6], v[0:1], off
	s_waitcnt vmcnt(0)
	v_fmac_f32_e32 v4, v8, v5
	v_fmac_f32_e32 v3, v7, v5
	;; [unrolled: 1-line block ×3, first 2 shown]
	s_delay_alu instid0(VALU_DEP_2)
	v_fma_f32 v3, -v8, v6, v3
	global_store_b64 v[0:1], v[3:4], off
.LBB94_30:
	s_nop 0
	s_sendmsg sendmsg(MSG_DEALLOC_VGPRS)
	s_endpgm
	.section	.rodata,"a",@progbits
	.p2align	6, 0x0
	.amdhsa_kernel _ZN9rocsparseL22gebsrmvn_mxn_16_kernelILj64ELj16ELj1E21rocsparse_complex_numIfEEEvi20rocsparse_direction_NS_24const_host_device_scalarIT2_EEPKiS8_PKS5_iiSA_S6_PS5_21rocsparse_index_base_b
		.amdhsa_group_segment_fixed_size 512
		.amdhsa_private_segment_fixed_size 0
		.amdhsa_kernarg_size 80
		.amdhsa_user_sgpr_count 15
		.amdhsa_user_sgpr_dispatch_ptr 0
		.amdhsa_user_sgpr_queue_ptr 0
		.amdhsa_user_sgpr_kernarg_segment_ptr 1
		.amdhsa_user_sgpr_dispatch_id 0
		.amdhsa_user_sgpr_private_segment_size 0
		.amdhsa_wavefront_size32 1
		.amdhsa_uses_dynamic_stack 0
		.amdhsa_enable_private_segment 0
		.amdhsa_system_sgpr_workgroup_id_x 1
		.amdhsa_system_sgpr_workgroup_id_y 0
		.amdhsa_system_sgpr_workgroup_id_z 0
		.amdhsa_system_sgpr_workgroup_info 0
		.amdhsa_system_vgpr_workitem_id 0
		.amdhsa_next_free_vgpr 15
		.amdhsa_next_free_sgpr 16
		.amdhsa_reserve_vcc 1
		.amdhsa_float_round_mode_32 0
		.amdhsa_float_round_mode_16_64 0
		.amdhsa_float_denorm_mode_32 3
		.amdhsa_float_denorm_mode_16_64 3
		.amdhsa_dx10_clamp 1
		.amdhsa_ieee_mode 1
		.amdhsa_fp16_overflow 0
		.amdhsa_workgroup_processor_mode 1
		.amdhsa_memory_ordered 1
		.amdhsa_forward_progress 0
		.amdhsa_shared_vgpr_count 0
		.amdhsa_exception_fp_ieee_invalid_op 0
		.amdhsa_exception_fp_denorm_src 0
		.amdhsa_exception_fp_ieee_div_zero 0
		.amdhsa_exception_fp_ieee_overflow 0
		.amdhsa_exception_fp_ieee_underflow 0
		.amdhsa_exception_fp_ieee_inexact 0
		.amdhsa_exception_int_div_zero 0
	.end_amdhsa_kernel
	.section	.text._ZN9rocsparseL22gebsrmvn_mxn_16_kernelILj64ELj16ELj1E21rocsparse_complex_numIfEEEvi20rocsparse_direction_NS_24const_host_device_scalarIT2_EEPKiS8_PKS5_iiSA_S6_PS5_21rocsparse_index_base_b,"axG",@progbits,_ZN9rocsparseL22gebsrmvn_mxn_16_kernelILj64ELj16ELj1E21rocsparse_complex_numIfEEEvi20rocsparse_direction_NS_24const_host_device_scalarIT2_EEPKiS8_PKS5_iiSA_S6_PS5_21rocsparse_index_base_b,comdat
.Lfunc_end94:
	.size	_ZN9rocsparseL22gebsrmvn_mxn_16_kernelILj64ELj16ELj1E21rocsparse_complex_numIfEEEvi20rocsparse_direction_NS_24const_host_device_scalarIT2_EEPKiS8_PKS5_iiSA_S6_PS5_21rocsparse_index_base_b, .Lfunc_end94-_ZN9rocsparseL22gebsrmvn_mxn_16_kernelILj64ELj16ELj1E21rocsparse_complex_numIfEEEvi20rocsparse_direction_NS_24const_host_device_scalarIT2_EEPKiS8_PKS5_iiSA_S6_PS5_21rocsparse_index_base_b
                                        ; -- End function
	.section	.AMDGPU.csdata,"",@progbits
; Kernel info:
; codeLenInByte = 1044
; NumSgprs: 18
; NumVgprs: 15
; ScratchSize: 0
; MemoryBound: 0
; FloatMode: 240
; IeeeMode: 1
; LDSByteSize: 512 bytes/workgroup (compile time only)
; SGPRBlocks: 2
; VGPRBlocks: 1
; NumSGPRsForWavesPerEU: 18
; NumVGPRsForWavesPerEU: 15
; Occupancy: 16
; WaveLimiterHint : 1
; COMPUTE_PGM_RSRC2:SCRATCH_EN: 0
; COMPUTE_PGM_RSRC2:USER_SGPR: 15
; COMPUTE_PGM_RSRC2:TRAP_HANDLER: 0
; COMPUTE_PGM_RSRC2:TGID_X_EN: 1
; COMPUTE_PGM_RSRC2:TGID_Y_EN: 0
; COMPUTE_PGM_RSRC2:TGID_Z_EN: 0
; COMPUTE_PGM_RSRC2:TIDIG_COMP_CNT: 0
	.section	.text._ZN9rocsparseL22gebsrmvn_mxn_16_kernelILj64ELj16ELj2E21rocsparse_complex_numIfEEEvi20rocsparse_direction_NS_24const_host_device_scalarIT2_EEPKiS8_PKS5_iiSA_S6_PS5_21rocsparse_index_base_b,"axG",@progbits,_ZN9rocsparseL22gebsrmvn_mxn_16_kernelILj64ELj16ELj2E21rocsparse_complex_numIfEEEvi20rocsparse_direction_NS_24const_host_device_scalarIT2_EEPKiS8_PKS5_iiSA_S6_PS5_21rocsparse_index_base_b,comdat
	.globl	_ZN9rocsparseL22gebsrmvn_mxn_16_kernelILj64ELj16ELj2E21rocsparse_complex_numIfEEEvi20rocsparse_direction_NS_24const_host_device_scalarIT2_EEPKiS8_PKS5_iiSA_S6_PS5_21rocsparse_index_base_b ; -- Begin function _ZN9rocsparseL22gebsrmvn_mxn_16_kernelILj64ELj16ELj2E21rocsparse_complex_numIfEEEvi20rocsparse_direction_NS_24const_host_device_scalarIT2_EEPKiS8_PKS5_iiSA_S6_PS5_21rocsparse_index_base_b
	.p2align	8
	.type	_ZN9rocsparseL22gebsrmvn_mxn_16_kernelILj64ELj16ELj2E21rocsparse_complex_numIfEEEvi20rocsparse_direction_NS_24const_host_device_scalarIT2_EEPKiS8_PKS5_iiSA_S6_PS5_21rocsparse_index_base_b,@function
_ZN9rocsparseL22gebsrmvn_mxn_16_kernelILj64ELj16ELj2E21rocsparse_complex_numIfEEEvi20rocsparse_direction_NS_24const_host_device_scalarIT2_EEPKiS8_PKS5_iiSA_S6_PS5_21rocsparse_index_base_b: ; @_ZN9rocsparseL22gebsrmvn_mxn_16_kernelILj64ELj16ELj2E21rocsparse_complex_numIfEEEvi20rocsparse_direction_NS_24const_host_device_scalarIT2_EEPKiS8_PKS5_iiSA_S6_PS5_21rocsparse_index_base_b
; %bb.0:
	s_clause 0x2
	s_load_b64 s[10:11], s[0:1], 0x48
	s_load_b64 s[4:5], s[0:1], 0x8
	s_load_b64 s[2:3], s[0:1], 0x38
	s_mov_b32 s8, s15
	s_waitcnt lgkmcnt(0)
	s_bitcmp1_b32 s11, 0
	v_mov_b32_e32 v9, s4
	s_cselect_b32 s6, -1, 0
	s_delay_alu instid0(SALU_CYCLE_1)
	s_and_b32 vcc_lo, exec_lo, s6
	s_xor_b32 s6, s6, -1
	s_cbranch_vccz .LBB95_13
; %bb.1:
	v_cndmask_b32_e64 v1, 0, 1, s6
	v_mov_b32_e32 v10, s5
	s_and_not1_b32 vcc_lo, exec_lo, s6
	s_cbranch_vccz .LBB95_14
.LBB95_2:
	s_delay_alu instid0(VALU_DEP_2)
	v_cmp_ne_u32_e32 vcc_lo, 1, v1
	v_mov_b32_e32 v7, s2
	s_cbranch_vccz .LBB95_15
.LBB95_3:
	v_cmp_ne_u32_e32 vcc_lo, 1, v1
	v_mov_b32_e32 v8, s3
	s_cbranch_vccnz .LBB95_5
.LBB95_4:
	v_dual_mov_b32 v1, s2 :: v_dual_mov_b32 v2, s3
	flat_load_b32 v8, v[1:2] offset:4
.LBB95_5:
	s_waitcnt vmcnt(0) lgkmcnt(0)
	v_cmp_eq_f32_e32 vcc_lo, 0, v9
	v_cmp_eq_f32_e64 s2, 0, v10
	s_delay_alu instid0(VALU_DEP_1)
	s_and_b32 s4, vcc_lo, s2
	s_mov_b32 s2, -1
	s_and_saveexec_b32 s3, s4
; %bb.6:
	v_cmp_neq_f32_e32 vcc_lo, 1.0, v7
	v_cmp_neq_f32_e64 s2, 0, v8
	s_delay_alu instid0(VALU_DEP_1) | instskip(NEXT) | instid1(SALU_CYCLE_1)
	s_or_b32 s2, vcc_lo, s2
	s_or_not1_b32 s2, s2, exec_lo
; %bb.7:
	s_or_b32 exec_lo, exec_lo, s3
	s_and_saveexec_b32 s3, s2
	s_cbranch_execz .LBB95_35
; %bb.8:
	s_clause 0x2
	s_load_b64 s[2:3], s[0:1], 0x40
	s_load_b32 s6, s[0:1], 0x4
	s_load_b64 s[4:5], s[0:1], 0x10
	v_dual_mov_b32 v2, 0 :: v_dual_and_b32 v11, 1, v0
	v_mov_b32_e32 v1, 0
	s_waitcnt lgkmcnt(0)
	s_cmp_eq_u32 s6, 1
	s_cselect_b32 vcc_lo, -1, 0
	s_cmp_lg_u32 s6, 1
	s_cselect_b32 s11, -1, 0
	s_ashr_i32 s9, s8, 31
	s_delay_alu instid0(SALU_CYCLE_1) | instskip(NEXT) | instid1(SALU_CYCLE_1)
	s_lshl_b64 s[6:7], s[8:9], 2
	s_add_u32 s4, s4, s6
	s_addc_u32 s5, s5, s7
	s_load_b64 s[12:13], s[4:5], 0x0
	s_waitcnt lgkmcnt(0)
	s_cmp_ge_i32 s12, s13
	s_cbranch_scc1 .LBB95_16
; %bb.9:
	s_clause 0x1
	s_load_b128 s[4:7], s[0:1], 0x18
	s_load_b64 s[0:1], s[0:1], 0x30
	v_bfe_u32 v1, v0, 4, 1
	v_lshl_add_u32 v3, s12, 5, v0
	v_mov_b32_e32 v2, 0
	s_lshl_b32 s9, s10, 5
	v_lshrrev_b32_e32 v13, 5, v0
	v_cndmask_b32_e32 v12, v11, v1, vcc_lo
	v_subrev_nc_u32_e32 v3, s9, v3
	v_dual_mov_b32 v1, v2 :: v_dual_mov_b32 v4, 0
	s_sub_i32 s9, s13, s10
	s_sub_i32 s12, s12, s10
	s_set_inst_prefetch_distance 0x1
	s_branch .LBB95_11
	.p2align	6
.LBB95_10:                              ;   in Loop: Header=BB95_11 Depth=1
	s_or_b32 exec_lo, exec_lo, s13
	v_add_nc_u32_e32 v3, 64, v3
	s_add_i32 s12, s12, 2
	s_delay_alu instid0(SALU_CYCLE_1)
	s_cmp_ge_i32 s12, s9
	s_cbranch_scc1 .LBB95_16
.LBB95_11:                              ; =>This Inner Loop Header: Depth=1
	v_add_nc_u32_e32 v5, s12, v13
	s_mov_b32 s13, exec_lo
	s_delay_alu instid0(VALU_DEP_1)
	v_cmpx_gt_i32_e64 s9, v5
	s_cbranch_execz .LBB95_10
; %bb.12:                               ;   in Loop: Header=BB95_11 Depth=1
	v_ashrrev_i32_e32 v6, 31, v5
	v_lshlrev_b64 v[14:15], 3, v[3:4]
	s_delay_alu instid0(VALU_DEP_2) | instskip(SKIP_1) | instid1(VALU_DEP_1)
	v_lshlrev_b64 v[5:6], 2, v[5:6]
	s_waitcnt lgkmcnt(0)
	v_add_co_u32 v5, vcc_lo, s4, v5
	s_delay_alu instid0(VALU_DEP_2) | instskip(NEXT) | instid1(VALU_DEP_4)
	v_add_co_ci_u32_e32 v6, vcc_lo, s5, v6, vcc_lo
	v_add_co_u32 v14, vcc_lo, s6, v14
	v_add_co_ci_u32_e32 v15, vcc_lo, s7, v15, vcc_lo
	global_load_b32 v5, v[5:6], off
	s_waitcnt vmcnt(0)
	v_subrev_nc_u32_e32 v5, s10, v5
	s_delay_alu instid0(VALU_DEP_1) | instskip(NEXT) | instid1(VALU_DEP_1)
	v_lshl_or_b32 v5, v5, 1, v12
	v_ashrrev_i32_e32 v6, 31, v5
	s_delay_alu instid0(VALU_DEP_1) | instskip(NEXT) | instid1(VALU_DEP_1)
	v_lshlrev_b64 v[5:6], 3, v[5:6]
	v_add_co_u32 v5, vcc_lo, s0, v5
	s_delay_alu instid0(VALU_DEP_2)
	v_add_co_ci_u32_e32 v6, vcc_lo, s1, v6, vcc_lo
	global_load_b64 v[14:15], v[14:15], off
	global_load_b64 v[5:6], v[5:6], off
	s_waitcnt vmcnt(0)
	v_fmac_f32_e32 v1, v14, v5
	v_fmac_f32_e32 v2, v15, v5
	s_delay_alu instid0(VALU_DEP_2) | instskip(NEXT) | instid1(VALU_DEP_2)
	v_fma_f32 v1, -v15, v6, v1
	v_fmac_f32_e32 v2, v14, v6
	s_branch .LBB95_10
.LBB95_13:
	v_dual_mov_b32 v1, s4 :: v_dual_mov_b32 v2, s5
	flat_load_b32 v9, v[1:2]
	v_cndmask_b32_e64 v1, 0, 1, s6
	v_mov_b32_e32 v10, s5
	s_and_not1_b32 vcc_lo, exec_lo, s6
	s_cbranch_vccnz .LBB95_2
.LBB95_14:
	v_dual_mov_b32 v2, s4 :: v_dual_mov_b32 v3, s5
	flat_load_b32 v10, v[2:3] offset:4
	v_cmp_ne_u32_e32 vcc_lo, 1, v1
	v_mov_b32_e32 v7, s2
	s_cbranch_vccnz .LBB95_3
.LBB95_15:
	v_dual_mov_b32 v2, s2 :: v_dual_mov_b32 v3, s3
	flat_load_b32 v7, v[2:3]
	v_cmp_ne_u32_e32 vcc_lo, 1, v1
	v_mov_b32_e32 v8, s3
	s_cbranch_vccz .LBB95_4
	s_branch .LBB95_5
.LBB95_16:
	s_set_inst_prefetch_distance 0x2
	v_lshlrev_b32_e32 v5, 3, v0
	s_waitcnt lgkmcnt(0)
	s_mov_b32 s0, exec_lo
	ds_store_b64 v5, v[1:2]
	s_waitcnt lgkmcnt(0)
	s_barrier
	buffer_gl0_inv
	v_cmpx_gt_u32_e32 32, v0
	s_cbranch_execz .LBB95_18
; %bb.17:
	ds_load_2addr_b64 v[12:15], v5 offset1:32
	s_waitcnt lgkmcnt(0)
	v_dual_add_f32 v3, v14, v12 :: v_dual_add_f32 v4, v15, v13
	ds_store_b64 v5, v[3:4]
.LBB95_18:
	s_or_b32 exec_lo, exec_lo, s0
	s_delay_alu instid0(SALU_CYCLE_1)
	s_and_b32 vcc_lo, exec_lo, s11
	s_waitcnt lgkmcnt(0)
	s_barrier
	buffer_gl0_inv
	s_cbranch_vccz .LBB95_24
; %bb.19:
	s_mov_b32 s0, exec_lo
	v_cmpx_eq_u32_e32 0, v11
	s_cbranch_execz .LBB95_21
; %bb.20:
	ds_load_2addr_b64 v[11:14], v5 offset1:1
	s_waitcnt lgkmcnt(0)
	v_dual_add_f32 v3, v13, v11 :: v_dual_add_f32 v4, v14, v12
	ds_store_b64 v5, v[3:4]
.LBB95_21:
	s_or_b32 exec_lo, exec_lo, s0
	v_dual_mov_b32 v4, v2 :: v_dual_mov_b32 v3, v1
	s_mov_b32 s0, exec_lo
	s_waitcnt lgkmcnt(0)
	s_barrier
	buffer_gl0_inv
	v_cmpx_gt_u32_e32 16, v0
	s_cbranch_execz .LBB95_23
; %bb.22:
	v_lshl_add_u32 v3, v0, 3, v5
	ds_load_b64 v[3:4], v3
.LBB95_23:
	s_or_b32 exec_lo, exec_lo, s0
	s_branch .LBB95_30
.LBB95_24:
                                        ; implicit-def: $vgpr4
	s_cbranch_execz .LBB95_30
; %bb.25:
	s_mov_b32 s0, exec_lo
	v_cmpx_lt_u32_e32 15, v0
	s_xor_b32 s0, exec_lo, s0
	s_cbranch_execz .LBB95_27
; %bb.26:
	s_waitcnt lgkmcnt(0)
	buffer_gl0_inv
                                        ; implicit-def: $vgpr5
.LBB95_27:
	s_and_not1_saveexec_b32 s0, s0
	s_cbranch_execz .LBB95_29
; %bb.28:
	s_waitcnt lgkmcnt(0)
	ds_load_2addr_b64 v[1:4], v5 offset1:16
	s_waitcnt lgkmcnt(0)
	v_dual_add_f32 v1, v3, v1 :: v_dual_add_f32 v2, v4, v2
	ds_store_b64 v5, v[1:2]
	s_waitcnt lgkmcnt(0)
	buffer_gl0_inv
	ds_load_b64 v[1:2], v5
.LBB95_29:
	s_or_b32 exec_lo, exec_lo, s0
	s_waitcnt lgkmcnt(0)
	v_dual_mov_b32 v3, v1 :: v_dual_mov_b32 v4, v2
.LBB95_30:
	v_cmp_gt_u32_e32 vcc_lo, 16, v0
	s_and_b32 exec_lo, exec_lo, vcc_lo
	s_cbranch_execz .LBB95_35
; %bb.31:
	s_waitcnt lgkmcnt(0)
	v_mul_f32_e64 v1, v4, -v10
	v_mul_f32_e32 v2, v4, v9
	v_cmp_eq_f32_e32 vcc_lo, 0, v7
	v_cmp_eq_f32_e64 s0, 0, v8
	s_delay_alu instid0(VALU_DEP_4) | instskip(NEXT) | instid1(VALU_DEP_4)
	v_fmac_f32_e32 v1, v9, v3
	v_fmac_f32_e32 v2, v10, v3
	v_lshl_or_b32 v3, s8, 4, v0
	s_delay_alu instid0(VALU_DEP_4) | instskip(NEXT) | instid1(SALU_CYCLE_1)
	s_and_b32 s0, vcc_lo, s0
	s_and_saveexec_b32 s1, s0
	s_delay_alu instid0(SALU_CYCLE_1)
	s_xor_b32 s0, exec_lo, s1
	s_cbranch_execz .LBB95_33
; %bb.32:
	v_mov_b32_e32 v4, 0
                                        ; implicit-def: $vgpr7
                                        ; implicit-def: $vgpr8
	s_delay_alu instid0(VALU_DEP_1) | instskip(NEXT) | instid1(VALU_DEP_1)
	v_lshlrev_b64 v[3:4], 3, v[3:4]
	v_add_co_u32 v3, vcc_lo, s2, v3
	s_delay_alu instid0(VALU_DEP_2)
	v_add_co_ci_u32_e32 v4, vcc_lo, s3, v4, vcc_lo
	global_store_b64 v[3:4], v[1:2], off
                                        ; implicit-def: $vgpr3
                                        ; implicit-def: $vgpr1
.LBB95_33:
	s_and_not1_saveexec_b32 s0, s0
	s_cbranch_execz .LBB95_35
; %bb.34:
	v_mov_b32_e32 v4, 0
	s_delay_alu instid0(VALU_DEP_1) | instskip(NEXT) | instid1(VALU_DEP_1)
	v_lshlrev_b64 v[3:4], 3, v[3:4]
	v_add_co_u32 v3, vcc_lo, s2, v3
	s_delay_alu instid0(VALU_DEP_2) | instskip(SKIP_4) | instid1(VALU_DEP_2)
	v_add_co_ci_u32_e32 v4, vcc_lo, s3, v4, vcc_lo
	global_load_b64 v[5:6], v[3:4], off
	s_waitcnt vmcnt(0)
	v_fmac_f32_e32 v1, v7, v5
	v_fmac_f32_e32 v2, v8, v5
	v_fma_f32 v1, -v8, v6, v1
	s_delay_alu instid0(VALU_DEP_2)
	v_fmac_f32_e32 v2, v7, v6
	global_store_b64 v[3:4], v[1:2], off
.LBB95_35:
	s_nop 0
	s_sendmsg sendmsg(MSG_DEALLOC_VGPRS)
	s_endpgm
	.section	.rodata,"a",@progbits
	.p2align	6, 0x0
	.amdhsa_kernel _ZN9rocsparseL22gebsrmvn_mxn_16_kernelILj64ELj16ELj2E21rocsparse_complex_numIfEEEvi20rocsparse_direction_NS_24const_host_device_scalarIT2_EEPKiS8_PKS5_iiSA_S6_PS5_21rocsparse_index_base_b
		.amdhsa_group_segment_fixed_size 512
		.amdhsa_private_segment_fixed_size 0
		.amdhsa_kernarg_size 80
		.amdhsa_user_sgpr_count 15
		.amdhsa_user_sgpr_dispatch_ptr 0
		.amdhsa_user_sgpr_queue_ptr 0
		.amdhsa_user_sgpr_kernarg_segment_ptr 1
		.amdhsa_user_sgpr_dispatch_id 0
		.amdhsa_user_sgpr_private_segment_size 0
		.amdhsa_wavefront_size32 1
		.amdhsa_uses_dynamic_stack 0
		.amdhsa_enable_private_segment 0
		.amdhsa_system_sgpr_workgroup_id_x 1
		.amdhsa_system_sgpr_workgroup_id_y 0
		.amdhsa_system_sgpr_workgroup_id_z 0
		.amdhsa_system_sgpr_workgroup_info 0
		.amdhsa_system_vgpr_workitem_id 0
		.amdhsa_next_free_vgpr 16
		.amdhsa_next_free_sgpr 16
		.amdhsa_reserve_vcc 1
		.amdhsa_float_round_mode_32 0
		.amdhsa_float_round_mode_16_64 0
		.amdhsa_float_denorm_mode_32 3
		.amdhsa_float_denorm_mode_16_64 3
		.amdhsa_dx10_clamp 1
		.amdhsa_ieee_mode 1
		.amdhsa_fp16_overflow 0
		.amdhsa_workgroup_processor_mode 1
		.amdhsa_memory_ordered 1
		.amdhsa_forward_progress 0
		.amdhsa_shared_vgpr_count 0
		.amdhsa_exception_fp_ieee_invalid_op 0
		.amdhsa_exception_fp_denorm_src 0
		.amdhsa_exception_fp_ieee_div_zero 0
		.amdhsa_exception_fp_ieee_overflow 0
		.amdhsa_exception_fp_ieee_underflow 0
		.amdhsa_exception_fp_ieee_inexact 0
		.amdhsa_exception_int_div_zero 0
	.end_amdhsa_kernel
	.section	.text._ZN9rocsparseL22gebsrmvn_mxn_16_kernelILj64ELj16ELj2E21rocsparse_complex_numIfEEEvi20rocsparse_direction_NS_24const_host_device_scalarIT2_EEPKiS8_PKS5_iiSA_S6_PS5_21rocsparse_index_base_b,"axG",@progbits,_ZN9rocsparseL22gebsrmvn_mxn_16_kernelILj64ELj16ELj2E21rocsparse_complex_numIfEEEvi20rocsparse_direction_NS_24const_host_device_scalarIT2_EEPKiS8_PKS5_iiSA_S6_PS5_21rocsparse_index_base_b,comdat
.Lfunc_end95:
	.size	_ZN9rocsparseL22gebsrmvn_mxn_16_kernelILj64ELj16ELj2E21rocsparse_complex_numIfEEEvi20rocsparse_direction_NS_24const_host_device_scalarIT2_EEPKiS8_PKS5_iiSA_S6_PS5_21rocsparse_index_base_b, .Lfunc_end95-_ZN9rocsparseL22gebsrmvn_mxn_16_kernelILj64ELj16ELj2E21rocsparse_complex_numIfEEEvi20rocsparse_direction_NS_24const_host_device_scalarIT2_EEPKiS8_PKS5_iiSA_S6_PS5_21rocsparse_index_base_b
                                        ; -- End function
	.section	.AMDGPU.csdata,"",@progbits
; Kernel info:
; codeLenInByte = 1224
; NumSgprs: 18
; NumVgprs: 16
; ScratchSize: 0
; MemoryBound: 0
; FloatMode: 240
; IeeeMode: 1
; LDSByteSize: 512 bytes/workgroup (compile time only)
; SGPRBlocks: 2
; VGPRBlocks: 1
; NumSGPRsForWavesPerEU: 18
; NumVGPRsForWavesPerEU: 16
; Occupancy: 16
; WaveLimiterHint : 1
; COMPUTE_PGM_RSRC2:SCRATCH_EN: 0
; COMPUTE_PGM_RSRC2:USER_SGPR: 15
; COMPUTE_PGM_RSRC2:TRAP_HANDLER: 0
; COMPUTE_PGM_RSRC2:TGID_X_EN: 1
; COMPUTE_PGM_RSRC2:TGID_Y_EN: 0
; COMPUTE_PGM_RSRC2:TGID_Z_EN: 0
; COMPUTE_PGM_RSRC2:TIDIG_COMP_CNT: 0
	.section	.text._ZN9rocsparseL22gebsrmvn_mxn_16_kernelILj48ELj16ELj3E21rocsparse_complex_numIfEEEvi20rocsparse_direction_NS_24const_host_device_scalarIT2_EEPKiS8_PKS5_iiSA_S6_PS5_21rocsparse_index_base_b,"axG",@progbits,_ZN9rocsparseL22gebsrmvn_mxn_16_kernelILj48ELj16ELj3E21rocsparse_complex_numIfEEEvi20rocsparse_direction_NS_24const_host_device_scalarIT2_EEPKiS8_PKS5_iiSA_S6_PS5_21rocsparse_index_base_b,comdat
	.globl	_ZN9rocsparseL22gebsrmvn_mxn_16_kernelILj48ELj16ELj3E21rocsparse_complex_numIfEEEvi20rocsparse_direction_NS_24const_host_device_scalarIT2_EEPKiS8_PKS5_iiSA_S6_PS5_21rocsparse_index_base_b ; -- Begin function _ZN9rocsparseL22gebsrmvn_mxn_16_kernelILj48ELj16ELj3E21rocsparse_complex_numIfEEEvi20rocsparse_direction_NS_24const_host_device_scalarIT2_EEPKiS8_PKS5_iiSA_S6_PS5_21rocsparse_index_base_b
	.p2align	8
	.type	_ZN9rocsparseL22gebsrmvn_mxn_16_kernelILj48ELj16ELj3E21rocsparse_complex_numIfEEEvi20rocsparse_direction_NS_24const_host_device_scalarIT2_EEPKiS8_PKS5_iiSA_S6_PS5_21rocsparse_index_base_b,@function
_ZN9rocsparseL22gebsrmvn_mxn_16_kernelILj48ELj16ELj3E21rocsparse_complex_numIfEEEvi20rocsparse_direction_NS_24const_host_device_scalarIT2_EEPKiS8_PKS5_iiSA_S6_PS5_21rocsparse_index_base_b: ; @_ZN9rocsparseL22gebsrmvn_mxn_16_kernelILj48ELj16ELj3E21rocsparse_complex_numIfEEEvi20rocsparse_direction_NS_24const_host_device_scalarIT2_EEPKiS8_PKS5_iiSA_S6_PS5_21rocsparse_index_base_b
; %bb.0:
	s_clause 0x2
	s_load_b64 s[10:11], s[0:1], 0x48
	s_load_b64 s[4:5], s[0:1], 0x8
	;; [unrolled: 1-line block ×3, first 2 shown]
	s_mov_b32 s8, s15
	s_waitcnt lgkmcnt(0)
	s_bitcmp1_b32 s11, 0
	v_mov_b32_e32 v10, s4
	s_cselect_b32 s6, -1, 0
	s_delay_alu instid0(SALU_CYCLE_1)
	s_and_b32 vcc_lo, exec_lo, s6
	s_xor_b32 s6, s6, -1
	s_cbranch_vccz .LBB96_13
; %bb.1:
	v_cndmask_b32_e64 v1, 0, 1, s6
	v_mov_b32_e32 v11, s5
	s_and_not1_b32 vcc_lo, exec_lo, s6
	s_cbranch_vccz .LBB96_14
.LBB96_2:
	s_delay_alu instid0(VALU_DEP_2)
	v_cmp_ne_u32_e32 vcc_lo, 1, v1
	v_mov_b32_e32 v8, s2
	s_cbranch_vccz .LBB96_15
.LBB96_3:
	v_cmp_ne_u32_e32 vcc_lo, 1, v1
	v_mov_b32_e32 v9, s3
	s_cbranch_vccnz .LBB96_5
.LBB96_4:
	v_dual_mov_b32 v1, s2 :: v_dual_mov_b32 v2, s3
	flat_load_b32 v9, v[1:2] offset:4
.LBB96_5:
	s_waitcnt vmcnt(0) lgkmcnt(0)
	v_cmp_eq_f32_e32 vcc_lo, 0, v10
	v_cmp_eq_f32_e64 s2, 0, v11
	s_delay_alu instid0(VALU_DEP_1)
	s_and_b32 s4, vcc_lo, s2
	s_mov_b32 s2, -1
	s_and_saveexec_b32 s3, s4
; %bb.6:
	v_cmp_neq_f32_e32 vcc_lo, 1.0, v8
	v_cmp_neq_f32_e64 s2, 0, v9
	s_delay_alu instid0(VALU_DEP_1) | instskip(NEXT) | instid1(SALU_CYCLE_1)
	s_or_b32 s2, vcc_lo, s2
	s_or_not1_b32 s2, s2, exec_lo
; %bb.7:
	s_or_b32 exec_lo, exec_lo, s3
	s_and_saveexec_b32 s3, s2
	s_cbranch_execz .LBB96_37
; %bb.8:
	s_clause 0x2
	s_load_b64 s[2:3], s[0:1], 0x40
	s_load_b32 s6, s[0:1], 0x4
	s_load_b64 s[4:5], s[0:1], 0x10
	v_mul_u32_u24_e32 v1, 0x5556, v0
	v_mov_b32_e32 v2, 0
	s_delay_alu instid0(VALU_DEP_2) | instskip(NEXT) | instid1(VALU_DEP_1)
	v_lshrrev_b32_e32 v1, 16, v1
	v_mul_lo_u16 v1, v1, 3
	s_delay_alu instid0(VALU_DEP_1)
	v_sub_nc_u16 v12, v0, v1
	v_mov_b32_e32 v1, 0
	s_waitcnt lgkmcnt(0)
	s_cmp_eq_u32 s6, 1
	s_cselect_b32 vcc_lo, -1, 0
	s_cmp_lg_u32 s6, 1
	s_cselect_b32 s11, -1, 0
	s_ashr_i32 s9, s8, 31
	s_delay_alu instid0(SALU_CYCLE_1) | instskip(NEXT) | instid1(SALU_CYCLE_1)
	s_lshl_b64 s[6:7], s[8:9], 2
	s_add_u32 s4, s4, s6
	s_addc_u32 s5, s5, s7
	s_load_b64 s[12:13], s[4:5], 0x0
	s_waitcnt lgkmcnt(0)
	s_cmp_ge_i32 s12, s13
	s_cbranch_scc1 .LBB96_16
; %bb.9:
	v_lshrrev_b32_e32 v3, 4, v0
	s_clause 0x1
	s_load_b128 s[4:7], s[0:1], 0x18
	s_load_b64 s[0:1], s[0:1], 0x30
	v_and_b32_e32 v5, 0xffff, v0
	s_mul_i32 s9, s10, 48
	v_mul_lo_u16 v1, 0x56, v3
	s_delay_alu instid0(VALU_DEP_1) | instskip(NEXT) | instid1(VALU_DEP_1)
	v_lshrrev_b16 v1, 8, v1
	v_mul_lo_u16 v4, v1, 3
	v_mad_u64_u32 v[1:2], null, s12, 48, v[0:1]
	s_sub_i32 s12, s12, s10
	s_delay_alu instid0(VALU_DEP_2) | instskip(SKIP_1) | instid1(VALU_DEP_3)
	v_sub_nc_u16 v2, v3, v4
	v_mov_b32_e32 v4, 0
	v_subrev_nc_u32_e32 v3, s9, v1
	s_delay_alu instid0(VALU_DEP_3) | instskip(SKIP_3) | instid1(VALU_DEP_3)
	v_dual_mov_b32 v2, 0 :: v_dual_and_b32 v7, 0xff, v2
	v_and_b32_e32 v6, 0xffff, v12
	v_mul_u32_u24_e32 v5, 0x556, v5
	s_sub_i32 s9, s13, s10
	v_mov_b32_e32 v1, v2
	s_delay_alu instid0(VALU_DEP_2)
	v_lshrrev_b32_e32 v13, 16, v5
	v_cndmask_b32_e32 v5, v6, v7, vcc_lo
	s_set_inst_prefetch_distance 0x1
	s_branch .LBB96_11
	.p2align	6
.LBB96_10:                              ;   in Loop: Header=BB96_11 Depth=1
	s_or_b32 exec_lo, exec_lo, s13
	v_add_nc_u32_e32 v3, 48, v3
	s_add_i32 s12, s12, 1
	s_delay_alu instid0(SALU_CYCLE_1)
	s_cmp_ge_i32 s12, s9
	s_cbranch_scc1 .LBB96_16
.LBB96_11:                              ; =>This Inner Loop Header: Depth=1
	s_delay_alu instid0(VALU_DEP_2) | instskip(SKIP_1) | instid1(VALU_DEP_1)
	v_add_nc_u32_e32 v6, s12, v13
	s_mov_b32 s13, exec_lo
	v_cmpx_gt_i32_e64 s9, v6
	s_cbranch_execz .LBB96_10
; %bb.12:                               ;   in Loop: Header=BB96_11 Depth=1
	v_ashrrev_i32_e32 v7, 31, v6
	s_delay_alu instid0(VALU_DEP_1) | instskip(SKIP_1) | instid1(VALU_DEP_1)
	v_lshlrev_b64 v[6:7], 2, v[6:7]
	s_waitcnt lgkmcnt(0)
	v_add_co_u32 v6, vcc_lo, s4, v6
	s_delay_alu instid0(VALU_DEP_2) | instskip(SKIP_3) | instid1(VALU_DEP_1)
	v_add_co_ci_u32_e32 v7, vcc_lo, s5, v7, vcc_lo
	global_load_b32 v6, v[6:7], off
	s_waitcnt vmcnt(0)
	v_subrev_nc_u32_e32 v14, s10, v6
	v_mad_u64_u32 v[6:7], null, v14, 3, v[5:6]
	v_lshlrev_b64 v[14:15], 3, v[3:4]
	s_delay_alu instid0(VALU_DEP_1) | instskip(NEXT) | instid1(VALU_DEP_3)
	v_add_co_u32 v14, vcc_lo, s6, v14
	v_ashrrev_i32_e32 v7, 31, v6
	s_delay_alu instid0(VALU_DEP_3) | instskip(NEXT) | instid1(VALU_DEP_2)
	v_add_co_ci_u32_e32 v15, vcc_lo, s7, v15, vcc_lo
	v_lshlrev_b64 v[6:7], 3, v[6:7]
	s_delay_alu instid0(VALU_DEP_1) | instskip(NEXT) | instid1(VALU_DEP_2)
	v_add_co_u32 v6, vcc_lo, s0, v6
	v_add_co_ci_u32_e32 v7, vcc_lo, s1, v7, vcc_lo
	global_load_b64 v[14:15], v[14:15], off
	global_load_b64 v[6:7], v[6:7], off
	s_waitcnt vmcnt(0)
	v_fmac_f32_e32 v1, v14, v6
	v_fmac_f32_e32 v2, v15, v6
	s_delay_alu instid0(VALU_DEP_2) | instskip(NEXT) | instid1(VALU_DEP_2)
	v_fma_f32 v1, -v15, v7, v1
	v_fmac_f32_e32 v2, v14, v7
	s_branch .LBB96_10
.LBB96_13:
	v_dual_mov_b32 v1, s4 :: v_dual_mov_b32 v2, s5
	flat_load_b32 v10, v[1:2]
	v_cndmask_b32_e64 v1, 0, 1, s6
	v_mov_b32_e32 v11, s5
	s_and_not1_b32 vcc_lo, exec_lo, s6
	s_cbranch_vccnz .LBB96_2
.LBB96_14:
	v_dual_mov_b32 v2, s4 :: v_dual_mov_b32 v3, s5
	flat_load_b32 v11, v[2:3] offset:4
	v_cmp_ne_u32_e32 vcc_lo, 1, v1
	v_mov_b32_e32 v8, s2
	s_cbranch_vccnz .LBB96_3
.LBB96_15:
	v_dual_mov_b32 v2, s2 :: v_dual_mov_b32 v3, s3
	flat_load_b32 v8, v[2:3]
	v_cmp_ne_u32_e32 vcc_lo, 1, v1
	v_mov_b32_e32 v9, s3
	s_cbranch_vccz .LBB96_4
	s_branch .LBB96_5
.LBB96_16:
	s_set_inst_prefetch_distance 0x2
	v_lshlrev_b32_e32 v5, 3, v0
	s_and_b32 vcc_lo, exec_lo, s11
	ds_store_b64 v5, v[1:2]
	s_waitcnt lgkmcnt(0)
	s_barrier
	buffer_gl0_inv
	s_cbranch_vccz .LBB96_24
; %bb.17:
	v_cmp_eq_u16_e32 vcc_lo, 0, v12
	s_and_saveexec_b32 s0, vcc_lo
	s_cbranch_execz .LBB96_19
; %bb.18:
	ds_load_2addr_b64 v[12:15], v5 offset1:2
	s_waitcnt lgkmcnt(0)
	v_dual_add_f32 v3, v14, v12 :: v_dual_add_f32 v4, v15, v13
	ds_store_b64 v5, v[3:4]
.LBB96_19:
	s_or_b32 exec_lo, exec_lo, s0
	s_waitcnt lgkmcnt(0)
	s_barrier
	buffer_gl0_inv
	s_and_saveexec_b32 s0, vcc_lo
	s_cbranch_execz .LBB96_21
; %bb.20:
	ds_load_2addr_b64 v[12:15], v5 offset1:1
	s_waitcnt lgkmcnt(0)
	v_dual_add_f32 v3, v14, v12 :: v_dual_add_f32 v4, v15, v13
	ds_store_b64 v5, v[3:4]
.LBB96_21:
	s_or_b32 exec_lo, exec_lo, s0
	v_dual_mov_b32 v4, v2 :: v_dual_mov_b32 v3, v1
	s_mov_b32 s0, exec_lo
	s_waitcnt lgkmcnt(0)
	s_barrier
	buffer_gl0_inv
	v_cmpx_gt_u32_e32 16, v0
	s_cbranch_execz .LBB96_23
; %bb.22:
	v_lshl_add_u32 v3, v0, 4, v5
	ds_load_b64 v[3:4], v3
.LBB96_23:
	s_or_b32 exec_lo, exec_lo, s0
	v_cmp_gt_u32_e64 s0, 16, v0
	s_branch .LBB96_32
.LBB96_24:
                                        ; implicit-def: $vgpr4
	v_cmp_gt_u32_e64 s0, 16, v0
	s_cbranch_execz .LBB96_32
; %bb.25:
	v_cmp_lt_u32_e32 vcc_lo, 15, v0
	s_delay_alu instid0(VALU_DEP_2)
	s_and_saveexec_b32 s1, s0
	s_cbranch_execz .LBB96_27
; %bb.26:
	ds_load_2addr_b64 v[12:15], v5 offset1:32
	s_waitcnt lgkmcnt(0)
	v_dual_add_f32 v3, v14, v12 :: v_dual_add_f32 v4, v15, v13
	ds_store_b64 v5, v[3:4]
.LBB96_27:
	s_or_b32 exec_lo, exec_lo, s1
	s_waitcnt lgkmcnt(0)
	s_barrier
	buffer_gl0_inv
	s_and_saveexec_b32 s0, vcc_lo
	s_delay_alu instid0(SALU_CYCLE_1)
	s_xor_b32 s0, exec_lo, s0
	s_cbranch_execz .LBB96_29
; %bb.28:
	buffer_gl0_inv
                                        ; implicit-def: $vgpr5
.LBB96_29:
	s_and_not1_saveexec_b32 s0, s0
	s_cbranch_execz .LBB96_31
; %bb.30:
	ds_load_2addr_b64 v[1:4], v5 offset1:16
	s_waitcnt lgkmcnt(0)
	v_dual_add_f32 v1, v3, v1 :: v_dual_add_f32 v2, v4, v2
	ds_store_b64 v5, v[1:2]
	s_waitcnt lgkmcnt(0)
	buffer_gl0_inv
	ds_load_b64 v[1:2], v5
.LBB96_31:
	s_or_b32 exec_lo, exec_lo, s0
	s_waitcnt lgkmcnt(0)
	v_dual_mov_b32 v4, v2 :: v_dual_mov_b32 v3, v1
.LBB96_32:
	v_cmp_gt_u32_e32 vcc_lo, 16, v0
	s_and_b32 exec_lo, exec_lo, vcc_lo
	s_cbranch_execz .LBB96_37
; %bb.33:
	s_waitcnt lgkmcnt(0)
	v_mul_f32_e64 v1, v4, -v11
	v_mul_f32_e32 v2, v4, v10
	v_cmp_eq_f32_e32 vcc_lo, 0, v8
	v_cmp_eq_f32_e64 s0, 0, v9
	s_delay_alu instid0(VALU_DEP_4) | instskip(NEXT) | instid1(VALU_DEP_4)
	v_fmac_f32_e32 v1, v10, v3
	v_fmac_f32_e32 v2, v11, v3
	v_lshl_or_b32 v3, s8, 4, v0
	s_delay_alu instid0(VALU_DEP_4) | instskip(NEXT) | instid1(SALU_CYCLE_1)
	s_and_b32 s0, vcc_lo, s0
	s_and_saveexec_b32 s1, s0
	s_delay_alu instid0(SALU_CYCLE_1)
	s_xor_b32 s0, exec_lo, s1
	s_cbranch_execz .LBB96_35
; %bb.34:
	v_mov_b32_e32 v4, 0
                                        ; implicit-def: $vgpr8
                                        ; implicit-def: $vgpr9
	s_delay_alu instid0(VALU_DEP_1) | instskip(NEXT) | instid1(VALU_DEP_1)
	v_lshlrev_b64 v[3:4], 3, v[3:4]
	v_add_co_u32 v3, vcc_lo, s2, v3
	s_delay_alu instid0(VALU_DEP_2)
	v_add_co_ci_u32_e32 v4, vcc_lo, s3, v4, vcc_lo
	global_store_b64 v[3:4], v[1:2], off
                                        ; implicit-def: $vgpr3
                                        ; implicit-def: $vgpr1
.LBB96_35:
	s_and_not1_saveexec_b32 s0, s0
	s_cbranch_execz .LBB96_37
; %bb.36:
	v_mov_b32_e32 v4, 0
	s_delay_alu instid0(VALU_DEP_1) | instskip(NEXT) | instid1(VALU_DEP_1)
	v_lshlrev_b64 v[3:4], 3, v[3:4]
	v_add_co_u32 v3, vcc_lo, s2, v3
	s_delay_alu instid0(VALU_DEP_2) | instskip(SKIP_4) | instid1(VALU_DEP_2)
	v_add_co_ci_u32_e32 v4, vcc_lo, s3, v4, vcc_lo
	global_load_b64 v[5:6], v[3:4], off
	s_waitcnt vmcnt(0)
	v_fmac_f32_e32 v1, v8, v5
	v_fmac_f32_e32 v2, v9, v5
	v_fma_f32 v1, -v9, v6, v1
	s_delay_alu instid0(VALU_DEP_2)
	v_fmac_f32_e32 v2, v8, v6
	global_store_b64 v[3:4], v[1:2], off
.LBB96_37:
	s_nop 0
	s_sendmsg sendmsg(MSG_DEALLOC_VGPRS)
	s_endpgm
	.section	.rodata,"a",@progbits
	.p2align	6, 0x0
	.amdhsa_kernel _ZN9rocsparseL22gebsrmvn_mxn_16_kernelILj48ELj16ELj3E21rocsparse_complex_numIfEEEvi20rocsparse_direction_NS_24const_host_device_scalarIT2_EEPKiS8_PKS5_iiSA_S6_PS5_21rocsparse_index_base_b
		.amdhsa_group_segment_fixed_size 384
		.amdhsa_private_segment_fixed_size 0
		.amdhsa_kernarg_size 80
		.amdhsa_user_sgpr_count 15
		.amdhsa_user_sgpr_dispatch_ptr 0
		.amdhsa_user_sgpr_queue_ptr 0
		.amdhsa_user_sgpr_kernarg_segment_ptr 1
		.amdhsa_user_sgpr_dispatch_id 0
		.amdhsa_user_sgpr_private_segment_size 0
		.amdhsa_wavefront_size32 1
		.amdhsa_uses_dynamic_stack 0
		.amdhsa_enable_private_segment 0
		.amdhsa_system_sgpr_workgroup_id_x 1
		.amdhsa_system_sgpr_workgroup_id_y 0
		.amdhsa_system_sgpr_workgroup_id_z 0
		.amdhsa_system_sgpr_workgroup_info 0
		.amdhsa_system_vgpr_workitem_id 0
		.amdhsa_next_free_vgpr 16
		.amdhsa_next_free_sgpr 16
		.amdhsa_reserve_vcc 1
		.amdhsa_float_round_mode_32 0
		.amdhsa_float_round_mode_16_64 0
		.amdhsa_float_denorm_mode_32 3
		.amdhsa_float_denorm_mode_16_64 3
		.amdhsa_dx10_clamp 1
		.amdhsa_ieee_mode 1
		.amdhsa_fp16_overflow 0
		.amdhsa_workgroup_processor_mode 1
		.amdhsa_memory_ordered 1
		.amdhsa_forward_progress 0
		.amdhsa_shared_vgpr_count 0
		.amdhsa_exception_fp_ieee_invalid_op 0
		.amdhsa_exception_fp_denorm_src 0
		.amdhsa_exception_fp_ieee_div_zero 0
		.amdhsa_exception_fp_ieee_overflow 0
		.amdhsa_exception_fp_ieee_underflow 0
		.amdhsa_exception_fp_ieee_inexact 0
		.amdhsa_exception_int_div_zero 0
	.end_amdhsa_kernel
	.section	.text._ZN9rocsparseL22gebsrmvn_mxn_16_kernelILj48ELj16ELj3E21rocsparse_complex_numIfEEEvi20rocsparse_direction_NS_24const_host_device_scalarIT2_EEPKiS8_PKS5_iiSA_S6_PS5_21rocsparse_index_base_b,"axG",@progbits,_ZN9rocsparseL22gebsrmvn_mxn_16_kernelILj48ELj16ELj3E21rocsparse_complex_numIfEEEvi20rocsparse_direction_NS_24const_host_device_scalarIT2_EEPKiS8_PKS5_iiSA_S6_PS5_21rocsparse_index_base_b,comdat
.Lfunc_end96:
	.size	_ZN9rocsparseL22gebsrmvn_mxn_16_kernelILj48ELj16ELj3E21rocsparse_complex_numIfEEEvi20rocsparse_direction_NS_24const_host_device_scalarIT2_EEPKiS8_PKS5_iiSA_S6_PS5_21rocsparse_index_base_b, .Lfunc_end96-_ZN9rocsparseL22gebsrmvn_mxn_16_kernelILj48ELj16ELj3E21rocsparse_complex_numIfEEEvi20rocsparse_direction_NS_24const_host_device_scalarIT2_EEPKiS8_PKS5_iiSA_S6_PS5_21rocsparse_index_base_b
                                        ; -- End function
	.section	.AMDGPU.csdata,"",@progbits
; Kernel info:
; codeLenInByte = 1396
; NumSgprs: 18
; NumVgprs: 16
; ScratchSize: 0
; MemoryBound: 0
; FloatMode: 240
; IeeeMode: 1
; LDSByteSize: 384 bytes/workgroup (compile time only)
; SGPRBlocks: 2
; VGPRBlocks: 1
; NumSGPRsForWavesPerEU: 18
; NumVGPRsForWavesPerEU: 16
; Occupancy: 16
; WaveLimiterHint : 1
; COMPUTE_PGM_RSRC2:SCRATCH_EN: 0
; COMPUTE_PGM_RSRC2:USER_SGPR: 15
; COMPUTE_PGM_RSRC2:TRAP_HANDLER: 0
; COMPUTE_PGM_RSRC2:TGID_X_EN: 1
; COMPUTE_PGM_RSRC2:TGID_Y_EN: 0
; COMPUTE_PGM_RSRC2:TGID_Z_EN: 0
; COMPUTE_PGM_RSRC2:TIDIG_COMP_CNT: 0
	.section	.text._ZN9rocsparseL22gebsrmvn_mxn_16_kernelILj64ELj16ELj4E21rocsparse_complex_numIfEEEvi20rocsparse_direction_NS_24const_host_device_scalarIT2_EEPKiS8_PKS5_iiSA_S6_PS5_21rocsparse_index_base_b,"axG",@progbits,_ZN9rocsparseL22gebsrmvn_mxn_16_kernelILj64ELj16ELj4E21rocsparse_complex_numIfEEEvi20rocsparse_direction_NS_24const_host_device_scalarIT2_EEPKiS8_PKS5_iiSA_S6_PS5_21rocsparse_index_base_b,comdat
	.globl	_ZN9rocsparseL22gebsrmvn_mxn_16_kernelILj64ELj16ELj4E21rocsparse_complex_numIfEEEvi20rocsparse_direction_NS_24const_host_device_scalarIT2_EEPKiS8_PKS5_iiSA_S6_PS5_21rocsparse_index_base_b ; -- Begin function _ZN9rocsparseL22gebsrmvn_mxn_16_kernelILj64ELj16ELj4E21rocsparse_complex_numIfEEEvi20rocsparse_direction_NS_24const_host_device_scalarIT2_EEPKiS8_PKS5_iiSA_S6_PS5_21rocsparse_index_base_b
	.p2align	8
	.type	_ZN9rocsparseL22gebsrmvn_mxn_16_kernelILj64ELj16ELj4E21rocsparse_complex_numIfEEEvi20rocsparse_direction_NS_24const_host_device_scalarIT2_EEPKiS8_PKS5_iiSA_S6_PS5_21rocsparse_index_base_b,@function
_ZN9rocsparseL22gebsrmvn_mxn_16_kernelILj64ELj16ELj4E21rocsparse_complex_numIfEEEvi20rocsparse_direction_NS_24const_host_device_scalarIT2_EEPKiS8_PKS5_iiSA_S6_PS5_21rocsparse_index_base_b: ; @_ZN9rocsparseL22gebsrmvn_mxn_16_kernelILj64ELj16ELj4E21rocsparse_complex_numIfEEEvi20rocsparse_direction_NS_24const_host_device_scalarIT2_EEPKiS8_PKS5_iiSA_S6_PS5_21rocsparse_index_base_b
; %bb.0:
	s_clause 0x2
	s_load_b64 s[10:11], s[0:1], 0x48
	s_load_b64 s[4:5], s[0:1], 0x8
	;; [unrolled: 1-line block ×3, first 2 shown]
	s_mov_b32 s8, s15
	s_waitcnt lgkmcnt(0)
	s_bitcmp1_b32 s11, 0
	v_mov_b32_e32 v7, s4
	s_cselect_b32 s6, -1, 0
	s_delay_alu instid0(SALU_CYCLE_1)
	s_and_b32 vcc_lo, exec_lo, s6
	s_xor_b32 s6, s6, -1
	s_cbranch_vccz .LBB97_13
; %bb.1:
	v_cndmask_b32_e64 v1, 0, 1, s6
	v_mov_b32_e32 v8, s5
	s_and_not1_b32 vcc_lo, exec_lo, s6
	s_cbranch_vccz .LBB97_14
.LBB97_2:
	s_delay_alu instid0(VALU_DEP_2)
	v_cmp_ne_u32_e32 vcc_lo, 1, v1
	v_mov_b32_e32 v5, s2
	s_cbranch_vccz .LBB97_15
.LBB97_3:
	v_cmp_ne_u32_e32 vcc_lo, 1, v1
	v_mov_b32_e32 v6, s3
	s_cbranch_vccnz .LBB97_5
.LBB97_4:
	v_dual_mov_b32 v1, s2 :: v_dual_mov_b32 v2, s3
	flat_load_b32 v6, v[1:2] offset:4
.LBB97_5:
	s_waitcnt vmcnt(0) lgkmcnt(0)
	v_cmp_eq_f32_e32 vcc_lo, 0, v7
	v_cmp_eq_f32_e64 s2, 0, v8
	s_delay_alu instid0(VALU_DEP_1)
	s_and_b32 s4, vcc_lo, s2
	s_mov_b32 s2, -1
	s_and_saveexec_b32 s3, s4
; %bb.6:
	v_cmp_neq_f32_e32 vcc_lo, 1.0, v5
	v_cmp_neq_f32_e64 s2, 0, v6
	s_delay_alu instid0(VALU_DEP_1) | instskip(NEXT) | instid1(SALU_CYCLE_1)
	s_or_b32 s2, vcc_lo, s2
	s_or_not1_b32 s2, s2, exec_lo
; %bb.7:
	s_or_b32 exec_lo, exec_lo, s3
	s_and_saveexec_b32 s3, s2
	s_cbranch_execz .LBB97_37
; %bb.8:
	s_clause 0x2
	s_load_b64 s[2:3], s[0:1], 0x40
	s_load_b32 s6, s[0:1], 0x4
	s_load_b64 s[4:5], s[0:1], 0x10
	v_dual_mov_b32 v1, 0 :: v_dual_and_b32 v10, 3, v0
	v_mov_b32_e32 v2, 0
	s_waitcnt lgkmcnt(0)
	s_cmp_eq_u32 s6, 1
	s_cselect_b32 vcc_lo, -1, 0
	s_cmp_lg_u32 s6, 1
	s_cselect_b32 s11, -1, 0
	s_ashr_i32 s9, s8, 31
	s_delay_alu instid0(SALU_CYCLE_1) | instskip(NEXT) | instid1(SALU_CYCLE_1)
	s_lshl_b64 s[6:7], s[8:9], 2
	s_add_u32 s4, s4, s6
	s_addc_u32 s5, s5, s7
	s_load_b64 s[12:13], s[4:5], 0x0
	s_waitcnt lgkmcnt(0)
	s_cmp_ge_i32 s12, s13
	s_cbranch_scc1 .LBB97_16
; %bb.9:
	s_clause 0x1
	s_load_b128 s[4:7], s[0:1], 0x18
	s_load_b64 s[0:1], s[0:1], 0x30
	v_lshrrev_b32_e32 v1, 4, v0
	v_lshl_or_b32 v3, s12, 6, v0
	v_mov_b32_e32 v2, 0
	s_lshl_b32 s9, s10, 6
	s_delay_alu instid0(VALU_DEP_3) | instskip(NEXT) | instid1(VALU_DEP_3)
	v_dual_mov_b32 v4, 0 :: v_dual_cndmask_b32 v9, v10, v1
	v_subrev_nc_u32_e32 v3, s9, v3
	s_delay_alu instid0(VALU_DEP_3)
	v_mov_b32_e32 v1, v2
	s_sub_i32 s9, s13, s10
	s_sub_i32 s12, s12, s10
	s_set_inst_prefetch_distance 0x1
	s_branch .LBB97_11
	.p2align	6
.LBB97_10:                              ;   in Loop: Header=BB97_11 Depth=1
	s_or_b32 exec_lo, exec_lo, s13
	v_add_nc_u32_e32 v3, 64, v3
	s_add_i32 s12, s12, 1
	s_delay_alu instid0(SALU_CYCLE_1)
	s_cmp_ge_i32 s12, s9
	s_cbranch_scc1 .LBB97_16
.LBB97_11:                              ; =>This Inner Loop Header: Depth=1
	s_cmp_lt_i32 s12, s9
	s_cselect_b32 s14, -1, 0
	s_delay_alu instid0(SALU_CYCLE_1)
	s_and_saveexec_b32 s13, s14
	s_cbranch_execz .LBB97_10
; %bb.12:                               ;   in Loop: Header=BB97_11 Depth=1
	v_mov_b32_e32 v11, s12
	v_ashrrev_i32_e64 v12, 31, s12
	v_lshlrev_b64 v[13:14], 3, v[3:4]
	s_delay_alu instid0(VALU_DEP_2) | instskip(SKIP_1) | instid1(VALU_DEP_1)
	v_lshlrev_b64 v[11:12], 2, v[11:12]
	s_waitcnt lgkmcnt(0)
	v_add_co_u32 v11, vcc_lo, s4, v11
	s_delay_alu instid0(VALU_DEP_2) | instskip(NEXT) | instid1(VALU_DEP_4)
	v_add_co_ci_u32_e32 v12, vcc_lo, s5, v12, vcc_lo
	v_add_co_u32 v13, vcc_lo, s6, v13
	v_add_co_ci_u32_e32 v14, vcc_lo, s7, v14, vcc_lo
	global_load_b32 v11, v[11:12], off
	s_waitcnt vmcnt(0)
	v_subrev_nc_u32_e32 v11, s10, v11
	s_delay_alu instid0(VALU_DEP_1) | instskip(NEXT) | instid1(VALU_DEP_1)
	v_lshl_or_b32 v11, v11, 2, v9
	v_ashrrev_i32_e32 v12, 31, v11
	s_delay_alu instid0(VALU_DEP_1) | instskip(NEXT) | instid1(VALU_DEP_1)
	v_lshlrev_b64 v[11:12], 3, v[11:12]
	v_add_co_u32 v11, vcc_lo, s0, v11
	s_delay_alu instid0(VALU_DEP_2)
	v_add_co_ci_u32_e32 v12, vcc_lo, s1, v12, vcc_lo
	global_load_b64 v[13:14], v[13:14], off
	global_load_b64 v[11:12], v[11:12], off
	s_waitcnt vmcnt(0)
	v_fmac_f32_e32 v1, v13, v11
	v_fmac_f32_e32 v2, v14, v11
	s_delay_alu instid0(VALU_DEP_2) | instskip(NEXT) | instid1(VALU_DEP_2)
	v_fma_f32 v1, -v14, v12, v1
	v_fmac_f32_e32 v2, v13, v12
	s_branch .LBB97_10
.LBB97_13:
	v_dual_mov_b32 v1, s4 :: v_dual_mov_b32 v2, s5
	flat_load_b32 v7, v[1:2]
	v_cndmask_b32_e64 v1, 0, 1, s6
	v_mov_b32_e32 v8, s5
	s_and_not1_b32 vcc_lo, exec_lo, s6
	s_cbranch_vccnz .LBB97_2
.LBB97_14:
	v_dual_mov_b32 v2, s4 :: v_dual_mov_b32 v3, s5
	flat_load_b32 v8, v[2:3] offset:4
	v_cmp_ne_u32_e32 vcc_lo, 1, v1
	v_mov_b32_e32 v5, s2
	s_cbranch_vccnz .LBB97_3
.LBB97_15:
	v_dual_mov_b32 v2, s2 :: v_dual_mov_b32 v3, s3
	flat_load_b32 v5, v[2:3]
	v_cmp_ne_u32_e32 vcc_lo, 1, v1
	v_mov_b32_e32 v6, s3
	s_cbranch_vccz .LBB97_4
	s_branch .LBB97_5
.LBB97_16:
	s_set_inst_prefetch_distance 0x2
	v_lshlrev_b32_e32 v9, 3, v0
	s_and_b32 vcc_lo, exec_lo, s11
	ds_store_b64 v9, v[1:2]
	s_waitcnt lgkmcnt(0)
	s_barrier
	buffer_gl0_inv
	s_cbranch_vccz .LBB97_24
; %bb.17:
	s_mov_b32 s0, exec_lo
	v_cmpx_gt_u32_e32 2, v10
	s_cbranch_execz .LBB97_19
; %bb.18:
	ds_load_2addr_b64 v[11:14], v9 offset1:2
	s_waitcnt lgkmcnt(0)
	v_dual_add_f32 v3, v13, v11 :: v_dual_add_f32 v4, v14, v12
	ds_store_b64 v9, v[3:4]
.LBB97_19:
	s_or_b32 exec_lo, exec_lo, s0
	s_delay_alu instid0(SALU_CYCLE_1)
	s_mov_b32 s0, exec_lo
	s_waitcnt lgkmcnt(0)
	s_barrier
	buffer_gl0_inv
	v_cmpx_eq_u32_e32 0, v10
	s_cbranch_execz .LBB97_21
; %bb.20:
	ds_load_2addr_b64 v[10:13], v9 offset1:1
	s_waitcnt lgkmcnt(0)
	v_dual_add_f32 v3, v12, v10 :: v_dual_add_f32 v4, v13, v11
	ds_store_b64 v9, v[3:4]
.LBB97_21:
	s_or_b32 exec_lo, exec_lo, s0
	v_dual_mov_b32 v4, v2 :: v_dual_mov_b32 v3, v1
	s_mov_b32 s0, exec_lo
	s_waitcnt lgkmcnt(0)
	s_barrier
	buffer_gl0_inv
	v_cmpx_gt_u32_e32 16, v0
	s_cbranch_execz .LBB97_23
; %bb.22:
	v_mad_u32_u24 v3, v0, 24, v9
	ds_load_b64 v[3:4], v3
.LBB97_23:
	s_or_b32 exec_lo, exec_lo, s0
	s_branch .LBB97_32
.LBB97_24:
                                        ; implicit-def: $vgpr4
	s_cbranch_execz .LBB97_32
; %bb.25:
	s_mov_b32 s0, exec_lo
	v_cmpx_gt_u32_e32 32, v0
	s_cbranch_execz .LBB97_27
; %bb.26:
	ds_load_2addr_b64 v[10:13], v9 offset1:32
	s_waitcnt lgkmcnt(0)
	v_dual_add_f32 v3, v12, v10 :: v_dual_add_f32 v4, v13, v11
	ds_store_b64 v9, v[3:4]
.LBB97_27:
	s_or_b32 exec_lo, exec_lo, s0
	s_delay_alu instid0(SALU_CYCLE_1)
	s_mov_b32 s0, exec_lo
	s_waitcnt lgkmcnt(0)
	buffer_gl0_inv
	v_cmpx_lt_u32_e32 15, v0
	s_xor_b32 s0, exec_lo, s0
	s_cbranch_execz .LBB97_29
; %bb.28:
	buffer_gl0_inv
                                        ; implicit-def: $vgpr9
.LBB97_29:
	s_and_not1_saveexec_b32 s0, s0
	s_cbranch_execz .LBB97_31
; %bb.30:
	ds_load_2addr_b64 v[1:4], v9 offset1:16
	s_waitcnt lgkmcnt(0)
	v_dual_add_f32 v1, v3, v1 :: v_dual_add_f32 v2, v4, v2
	ds_store_b64 v9, v[1:2]
	s_waitcnt lgkmcnt(0)
	buffer_gl0_inv
	ds_load_b64 v[1:2], v9
.LBB97_31:
	s_or_b32 exec_lo, exec_lo, s0
	s_waitcnt lgkmcnt(0)
	v_dual_mov_b32 v4, v2 :: v_dual_mov_b32 v3, v1
.LBB97_32:
	v_cmp_gt_u32_e32 vcc_lo, 16, v0
	s_and_b32 exec_lo, exec_lo, vcc_lo
	s_cbranch_execz .LBB97_37
; %bb.33:
	s_waitcnt lgkmcnt(0)
	v_mul_f32_e64 v1, v4, -v8
	v_mul_f32_e32 v2, v4, v7
	v_cmp_eq_f32_e32 vcc_lo, 0, v5
	v_cmp_eq_f32_e64 s0, 0, v6
	s_delay_alu instid0(VALU_DEP_4) | instskip(NEXT) | instid1(VALU_DEP_4)
	v_fmac_f32_e32 v1, v7, v3
	v_fmac_f32_e32 v2, v8, v3
	v_lshl_or_b32 v3, s8, 4, v0
	s_delay_alu instid0(VALU_DEP_4) | instskip(NEXT) | instid1(SALU_CYCLE_1)
	s_and_b32 s0, vcc_lo, s0
	s_and_saveexec_b32 s1, s0
	s_delay_alu instid0(SALU_CYCLE_1)
	s_xor_b32 s0, exec_lo, s1
	s_cbranch_execz .LBB97_35
; %bb.34:
	v_mov_b32_e32 v4, 0
                                        ; implicit-def: $vgpr5
                                        ; implicit-def: $vgpr6
	s_delay_alu instid0(VALU_DEP_1) | instskip(NEXT) | instid1(VALU_DEP_1)
	v_lshlrev_b64 v[3:4], 3, v[3:4]
	v_add_co_u32 v3, vcc_lo, s2, v3
	s_delay_alu instid0(VALU_DEP_2)
	v_add_co_ci_u32_e32 v4, vcc_lo, s3, v4, vcc_lo
	global_store_b64 v[3:4], v[1:2], off
                                        ; implicit-def: $vgpr3
                                        ; implicit-def: $vgpr1
.LBB97_35:
	s_and_not1_saveexec_b32 s0, s0
	s_cbranch_execz .LBB97_37
; %bb.36:
	v_mov_b32_e32 v4, 0
	s_delay_alu instid0(VALU_DEP_1) | instskip(NEXT) | instid1(VALU_DEP_1)
	v_lshlrev_b64 v[3:4], 3, v[3:4]
	v_add_co_u32 v3, vcc_lo, s2, v3
	s_delay_alu instid0(VALU_DEP_2) | instskip(SKIP_4) | instid1(VALU_DEP_2)
	v_add_co_ci_u32_e32 v4, vcc_lo, s3, v4, vcc_lo
	global_load_b64 v[7:8], v[3:4], off
	s_waitcnt vmcnt(0)
	v_fmac_f32_e32 v1, v5, v7
	v_fmac_f32_e32 v2, v6, v7
	v_fma_f32 v1, -v6, v8, v1
	s_delay_alu instid0(VALU_DEP_2)
	v_fmac_f32_e32 v2, v5, v8
	global_store_b64 v[3:4], v[1:2], off
.LBB97_37:
	s_nop 0
	s_sendmsg sendmsg(MSG_DEALLOC_VGPRS)
	s_endpgm
	.section	.rodata,"a",@progbits
	.p2align	6, 0x0
	.amdhsa_kernel _ZN9rocsparseL22gebsrmvn_mxn_16_kernelILj64ELj16ELj4E21rocsparse_complex_numIfEEEvi20rocsparse_direction_NS_24const_host_device_scalarIT2_EEPKiS8_PKS5_iiSA_S6_PS5_21rocsparse_index_base_b
		.amdhsa_group_segment_fixed_size 512
		.amdhsa_private_segment_fixed_size 0
		.amdhsa_kernarg_size 80
		.amdhsa_user_sgpr_count 15
		.amdhsa_user_sgpr_dispatch_ptr 0
		.amdhsa_user_sgpr_queue_ptr 0
		.amdhsa_user_sgpr_kernarg_segment_ptr 1
		.amdhsa_user_sgpr_dispatch_id 0
		.amdhsa_user_sgpr_private_segment_size 0
		.amdhsa_wavefront_size32 1
		.amdhsa_uses_dynamic_stack 0
		.amdhsa_enable_private_segment 0
		.amdhsa_system_sgpr_workgroup_id_x 1
		.amdhsa_system_sgpr_workgroup_id_y 0
		.amdhsa_system_sgpr_workgroup_id_z 0
		.amdhsa_system_sgpr_workgroup_info 0
		.amdhsa_system_vgpr_workitem_id 0
		.amdhsa_next_free_vgpr 15
		.amdhsa_next_free_sgpr 16
		.amdhsa_reserve_vcc 1
		.amdhsa_float_round_mode_32 0
		.amdhsa_float_round_mode_16_64 0
		.amdhsa_float_denorm_mode_32 3
		.amdhsa_float_denorm_mode_16_64 3
		.amdhsa_dx10_clamp 1
		.amdhsa_ieee_mode 1
		.amdhsa_fp16_overflow 0
		.amdhsa_workgroup_processor_mode 1
		.amdhsa_memory_ordered 1
		.amdhsa_forward_progress 0
		.amdhsa_shared_vgpr_count 0
		.amdhsa_exception_fp_ieee_invalid_op 0
		.amdhsa_exception_fp_denorm_src 0
		.amdhsa_exception_fp_ieee_div_zero 0
		.amdhsa_exception_fp_ieee_overflow 0
		.amdhsa_exception_fp_ieee_underflow 0
		.amdhsa_exception_fp_ieee_inexact 0
		.amdhsa_exception_int_div_zero 0
	.end_amdhsa_kernel
	.section	.text._ZN9rocsparseL22gebsrmvn_mxn_16_kernelILj64ELj16ELj4E21rocsparse_complex_numIfEEEvi20rocsparse_direction_NS_24const_host_device_scalarIT2_EEPKiS8_PKS5_iiSA_S6_PS5_21rocsparse_index_base_b,"axG",@progbits,_ZN9rocsparseL22gebsrmvn_mxn_16_kernelILj64ELj16ELj4E21rocsparse_complex_numIfEEEvi20rocsparse_direction_NS_24const_host_device_scalarIT2_EEPKiS8_PKS5_iiSA_S6_PS5_21rocsparse_index_base_b,comdat
.Lfunc_end97:
	.size	_ZN9rocsparseL22gebsrmvn_mxn_16_kernelILj64ELj16ELj4E21rocsparse_complex_numIfEEEvi20rocsparse_direction_NS_24const_host_device_scalarIT2_EEPKiS8_PKS5_iiSA_S6_PS5_21rocsparse_index_base_b, .Lfunc_end97-_ZN9rocsparseL22gebsrmvn_mxn_16_kernelILj64ELj16ELj4E21rocsparse_complex_numIfEEEvi20rocsparse_direction_NS_24const_host_device_scalarIT2_EEPKiS8_PKS5_iiSA_S6_PS5_21rocsparse_index_base_b
                                        ; -- End function
	.section	.AMDGPU.csdata,"",@progbits
; Kernel info:
; codeLenInByte = 1276
; NumSgprs: 18
; NumVgprs: 15
; ScratchSize: 0
; MemoryBound: 0
; FloatMode: 240
; IeeeMode: 1
; LDSByteSize: 512 bytes/workgroup (compile time only)
; SGPRBlocks: 2
; VGPRBlocks: 1
; NumSGPRsForWavesPerEU: 18
; NumVGPRsForWavesPerEU: 15
; Occupancy: 16
; WaveLimiterHint : 1
; COMPUTE_PGM_RSRC2:SCRATCH_EN: 0
; COMPUTE_PGM_RSRC2:USER_SGPR: 15
; COMPUTE_PGM_RSRC2:TRAP_HANDLER: 0
; COMPUTE_PGM_RSRC2:TGID_X_EN: 1
; COMPUTE_PGM_RSRC2:TGID_Y_EN: 0
; COMPUTE_PGM_RSRC2:TGID_Z_EN: 0
; COMPUTE_PGM_RSRC2:TIDIG_COMP_CNT: 0
	.section	.text._ZN9rocsparseL22gebsrmvn_mxn_16_kernelILj80ELj16ELj5E21rocsparse_complex_numIfEEEvi20rocsparse_direction_NS_24const_host_device_scalarIT2_EEPKiS8_PKS5_iiSA_S6_PS5_21rocsparse_index_base_b,"axG",@progbits,_ZN9rocsparseL22gebsrmvn_mxn_16_kernelILj80ELj16ELj5E21rocsparse_complex_numIfEEEvi20rocsparse_direction_NS_24const_host_device_scalarIT2_EEPKiS8_PKS5_iiSA_S6_PS5_21rocsparse_index_base_b,comdat
	.globl	_ZN9rocsparseL22gebsrmvn_mxn_16_kernelILj80ELj16ELj5E21rocsparse_complex_numIfEEEvi20rocsparse_direction_NS_24const_host_device_scalarIT2_EEPKiS8_PKS5_iiSA_S6_PS5_21rocsparse_index_base_b ; -- Begin function _ZN9rocsparseL22gebsrmvn_mxn_16_kernelILj80ELj16ELj5E21rocsparse_complex_numIfEEEvi20rocsparse_direction_NS_24const_host_device_scalarIT2_EEPKiS8_PKS5_iiSA_S6_PS5_21rocsparse_index_base_b
	.p2align	8
	.type	_ZN9rocsparseL22gebsrmvn_mxn_16_kernelILj80ELj16ELj5E21rocsparse_complex_numIfEEEvi20rocsparse_direction_NS_24const_host_device_scalarIT2_EEPKiS8_PKS5_iiSA_S6_PS5_21rocsparse_index_base_b,@function
_ZN9rocsparseL22gebsrmvn_mxn_16_kernelILj80ELj16ELj5E21rocsparse_complex_numIfEEEvi20rocsparse_direction_NS_24const_host_device_scalarIT2_EEPKiS8_PKS5_iiSA_S6_PS5_21rocsparse_index_base_b: ; @_ZN9rocsparseL22gebsrmvn_mxn_16_kernelILj80ELj16ELj5E21rocsparse_complex_numIfEEEvi20rocsparse_direction_NS_24const_host_device_scalarIT2_EEPKiS8_PKS5_iiSA_S6_PS5_21rocsparse_index_base_b
; %bb.0:
	s_clause 0x2
	s_load_b64 s[10:11], s[0:1], 0x48
	s_load_b64 s[4:5], s[0:1], 0x8
	;; [unrolled: 1-line block ×3, first 2 shown]
	s_mov_b32 s8, s15
	s_waitcnt lgkmcnt(0)
	s_bitcmp1_b32 s11, 0
	v_mov_b32_e32 v10, s4
	s_cselect_b32 s6, -1, 0
	s_delay_alu instid0(SALU_CYCLE_1)
	s_and_b32 vcc_lo, exec_lo, s6
	s_xor_b32 s6, s6, -1
	s_cbranch_vccz .LBB98_13
; %bb.1:
	v_cndmask_b32_e64 v1, 0, 1, s6
	v_mov_b32_e32 v11, s5
	s_and_not1_b32 vcc_lo, exec_lo, s6
	s_cbranch_vccz .LBB98_14
.LBB98_2:
	s_delay_alu instid0(VALU_DEP_2)
	v_cmp_ne_u32_e32 vcc_lo, 1, v1
	v_mov_b32_e32 v8, s2
	s_cbranch_vccz .LBB98_15
.LBB98_3:
	v_cmp_ne_u32_e32 vcc_lo, 1, v1
	v_mov_b32_e32 v9, s3
	s_cbranch_vccnz .LBB98_5
.LBB98_4:
	v_dual_mov_b32 v1, s2 :: v_dual_mov_b32 v2, s3
	flat_load_b32 v9, v[1:2] offset:4
.LBB98_5:
	s_waitcnt vmcnt(0) lgkmcnt(0)
	v_cmp_eq_f32_e32 vcc_lo, 0, v10
	v_cmp_eq_f32_e64 s2, 0, v11
	s_delay_alu instid0(VALU_DEP_1)
	s_and_b32 s4, vcc_lo, s2
	s_mov_b32 s2, -1
	s_and_saveexec_b32 s3, s4
; %bb.6:
	v_cmp_neq_f32_e32 vcc_lo, 1.0, v8
	v_cmp_neq_f32_e64 s2, 0, v9
	s_delay_alu instid0(VALU_DEP_1) | instskip(NEXT) | instid1(SALU_CYCLE_1)
	s_or_b32 s2, vcc_lo, s2
	s_or_not1_b32 s2, s2, exec_lo
; %bb.7:
	s_or_b32 exec_lo, exec_lo, s3
	s_and_saveexec_b32 s3, s2
	s_cbranch_execz .LBB98_41
; %bb.8:
	s_clause 0x2
	s_load_b64 s[2:3], s[0:1], 0x40
	s_load_b32 s6, s[0:1], 0x4
	s_load_b64 s[4:5], s[0:1], 0x10
	v_mul_u32_u24_e32 v1, 0x3334, v0
	v_mov_b32_e32 v2, 0
	s_delay_alu instid0(VALU_DEP_2) | instskip(NEXT) | instid1(VALU_DEP_1)
	v_lshrrev_b32_e32 v1, 16, v1
	v_mul_lo_u16 v1, v1, 5
	s_delay_alu instid0(VALU_DEP_1)
	v_sub_nc_u16 v12, v0, v1
	v_mov_b32_e32 v1, 0
	s_waitcnt lgkmcnt(0)
	s_cmp_eq_u32 s6, 1
	s_cselect_b32 vcc_lo, -1, 0
	s_cmp_lg_u32 s6, 1
	s_cselect_b32 s11, -1, 0
	s_ashr_i32 s9, s8, 31
	s_delay_alu instid0(SALU_CYCLE_1) | instskip(NEXT) | instid1(SALU_CYCLE_1)
	s_lshl_b64 s[6:7], s[8:9], 2
	s_add_u32 s4, s4, s6
	s_addc_u32 s5, s5, s7
	s_load_b64 s[12:13], s[4:5], 0x0
	s_waitcnt lgkmcnt(0)
	s_cmp_ge_i32 s12, s13
	s_cbranch_scc1 .LBB98_16
; %bb.9:
	v_lshrrev_b32_e32 v3, 4, v0
	s_clause 0x1
	s_load_b128 s[4:7], s[0:1], 0x18
	s_load_b64 s[0:1], s[0:1], 0x30
	v_and_b32_e32 v5, 0xffff, v0
	s_mul_i32 s9, s10, 0x50
	v_mul_lo_u16 v1, v3, 52
	s_delay_alu instid0(VALU_DEP_1) | instskip(NEXT) | instid1(VALU_DEP_1)
	v_lshrrev_b16 v1, 8, v1
	v_mul_lo_u16 v4, v1, 5
	v_mad_u64_u32 v[1:2], null, 0x50, s12, v[0:1]
	s_sub_i32 s12, s12, s10
	s_delay_alu instid0(VALU_DEP_2) | instskip(SKIP_1) | instid1(VALU_DEP_3)
	v_sub_nc_u16 v2, v3, v4
	v_mov_b32_e32 v4, 0
	v_subrev_nc_u32_e32 v3, s9, v1
	s_delay_alu instid0(VALU_DEP_3) | instskip(SKIP_3) | instid1(VALU_DEP_3)
	v_dual_mov_b32 v2, 0 :: v_dual_and_b32 v7, 0xff, v2
	v_and_b32_e32 v6, 0xffff, v12
	v_mul_u32_u24_e32 v5, 0x334, v5
	s_sub_i32 s9, s13, s10
	v_mov_b32_e32 v1, v2
	s_delay_alu instid0(VALU_DEP_2)
	v_lshrrev_b32_e32 v13, 16, v5
	v_cndmask_b32_e32 v5, v6, v7, vcc_lo
	s_set_inst_prefetch_distance 0x1
	s_branch .LBB98_11
	.p2align	6
.LBB98_10:                              ;   in Loop: Header=BB98_11 Depth=1
	s_or_b32 exec_lo, exec_lo, s13
	v_add_nc_u32_e32 v3, 0x50, v3
	s_add_i32 s12, s12, 1
	s_delay_alu instid0(SALU_CYCLE_1)
	s_cmp_ge_i32 s12, s9
	s_cbranch_scc1 .LBB98_16
.LBB98_11:                              ; =>This Inner Loop Header: Depth=1
	s_delay_alu instid0(VALU_DEP_2) | instskip(SKIP_1) | instid1(VALU_DEP_1)
	v_add_nc_u32_e32 v6, s12, v13
	s_mov_b32 s13, exec_lo
	v_cmpx_gt_i32_e64 s9, v6
	s_cbranch_execz .LBB98_10
; %bb.12:                               ;   in Loop: Header=BB98_11 Depth=1
	v_ashrrev_i32_e32 v7, 31, v6
	s_delay_alu instid0(VALU_DEP_1) | instskip(SKIP_1) | instid1(VALU_DEP_1)
	v_lshlrev_b64 v[6:7], 2, v[6:7]
	s_waitcnt lgkmcnt(0)
	v_add_co_u32 v6, vcc_lo, s4, v6
	s_delay_alu instid0(VALU_DEP_2) | instskip(SKIP_3) | instid1(VALU_DEP_1)
	v_add_co_ci_u32_e32 v7, vcc_lo, s5, v7, vcc_lo
	global_load_b32 v6, v[6:7], off
	s_waitcnt vmcnt(0)
	v_subrev_nc_u32_e32 v14, s10, v6
	v_mad_u64_u32 v[6:7], null, v14, 5, v[5:6]
	v_lshlrev_b64 v[14:15], 3, v[3:4]
	s_delay_alu instid0(VALU_DEP_1) | instskip(NEXT) | instid1(VALU_DEP_3)
	v_add_co_u32 v14, vcc_lo, s6, v14
	v_ashrrev_i32_e32 v7, 31, v6
	s_delay_alu instid0(VALU_DEP_3) | instskip(NEXT) | instid1(VALU_DEP_2)
	v_add_co_ci_u32_e32 v15, vcc_lo, s7, v15, vcc_lo
	v_lshlrev_b64 v[6:7], 3, v[6:7]
	s_delay_alu instid0(VALU_DEP_1) | instskip(NEXT) | instid1(VALU_DEP_2)
	v_add_co_u32 v6, vcc_lo, s0, v6
	v_add_co_ci_u32_e32 v7, vcc_lo, s1, v7, vcc_lo
	global_load_b64 v[14:15], v[14:15], off
	global_load_b64 v[6:7], v[6:7], off
	s_waitcnt vmcnt(0)
	v_fmac_f32_e32 v1, v14, v6
	v_fmac_f32_e32 v2, v15, v6
	s_delay_alu instid0(VALU_DEP_2) | instskip(NEXT) | instid1(VALU_DEP_2)
	v_fma_f32 v1, -v15, v7, v1
	v_fmac_f32_e32 v2, v14, v7
	s_branch .LBB98_10
.LBB98_13:
	v_dual_mov_b32 v1, s4 :: v_dual_mov_b32 v2, s5
	flat_load_b32 v10, v[1:2]
	v_cndmask_b32_e64 v1, 0, 1, s6
	v_mov_b32_e32 v11, s5
	s_and_not1_b32 vcc_lo, exec_lo, s6
	s_cbranch_vccnz .LBB98_2
.LBB98_14:
	v_dual_mov_b32 v2, s4 :: v_dual_mov_b32 v3, s5
	flat_load_b32 v11, v[2:3] offset:4
	v_cmp_ne_u32_e32 vcc_lo, 1, v1
	v_mov_b32_e32 v8, s2
	s_cbranch_vccnz .LBB98_3
.LBB98_15:
	v_dual_mov_b32 v2, s2 :: v_dual_mov_b32 v3, s3
	flat_load_b32 v8, v[2:3]
	v_cmp_ne_u32_e32 vcc_lo, 1, v1
	v_mov_b32_e32 v9, s3
	s_cbranch_vccz .LBB98_4
	s_branch .LBB98_5
.LBB98_16:
	s_set_inst_prefetch_distance 0x2
	v_lshlrev_b32_e32 v5, 3, v0
	s_and_b32 vcc_lo, exec_lo, s11
	ds_store_b64 v5, v[1:2]
	s_waitcnt lgkmcnt(0)
	s_barrier
	buffer_gl0_inv
	s_cbranch_vccz .LBB98_26
; %bb.17:
	v_cmp_eq_u16_e32 vcc_lo, 0, v12
	s_and_saveexec_b32 s0, vcc_lo
	s_cbranch_execz .LBB98_19
; %bb.18:
	ds_load_2addr_b64 v[13:16], v5 offset1:4
	s_waitcnt lgkmcnt(0)
	v_dual_add_f32 v3, v15, v13 :: v_dual_add_f32 v4, v16, v14
	ds_store_b64 v5, v[3:4]
.LBB98_19:
	s_or_b32 exec_lo, exec_lo, s0
	s_delay_alu instid0(SALU_CYCLE_1)
	s_mov_b32 s1, exec_lo
	s_waitcnt lgkmcnt(0)
	s_barrier
	buffer_gl0_inv
	v_cmpx_gt_u16_e32 2, v12
	s_cbranch_execz .LBB98_21
; %bb.20:
	ds_load_2addr_b64 v[12:15], v5 offset1:2
	s_waitcnt lgkmcnt(0)
	v_dual_add_f32 v3, v14, v12 :: v_dual_add_f32 v4, v15, v13
	ds_store_b64 v5, v[3:4]
.LBB98_21:
	s_or_b32 exec_lo, exec_lo, s1
	s_waitcnt lgkmcnt(0)
	s_barrier
	buffer_gl0_inv
	s_and_saveexec_b32 s0, vcc_lo
	s_cbranch_execz .LBB98_23
; %bb.22:
	ds_load_2addr_b64 v[12:15], v5 offset1:1
	s_waitcnt lgkmcnt(0)
	v_dual_add_f32 v3, v14, v12 :: v_dual_add_f32 v4, v15, v13
	ds_store_b64 v5, v[3:4]
.LBB98_23:
	s_or_b32 exec_lo, exec_lo, s0
	v_dual_mov_b32 v4, v2 :: v_dual_mov_b32 v3, v1
	s_mov_b32 s0, exec_lo
	s_waitcnt lgkmcnt(0)
	s_barrier
	buffer_gl0_inv
	v_cmpx_gt_u32_e32 16, v0
	s_cbranch_execz .LBB98_25
; %bb.24:
	v_lshl_add_u32 v3, v0, 5, v5
	ds_load_b64 v[3:4], v3
.LBB98_25:
	s_or_b32 exec_lo, exec_lo, s0
	v_cmp_gt_u32_e64 s0, 16, v0
	s_branch .LBB98_36
.LBB98_26:
                                        ; implicit-def: $vgpr4
	v_cmp_gt_u32_e64 s0, 16, v0
	s_cbranch_execz .LBB98_36
; %bb.27:
	v_cmp_lt_u32_e32 vcc_lo, 15, v0
	s_delay_alu instid0(VALU_DEP_2)
	s_and_saveexec_b32 s1, s0
	s_cbranch_execz .LBB98_29
; %bb.28:
	ds_load_2addr_stride64_b64 v[12:15], v5 offset1:1
	s_waitcnt lgkmcnt(0)
	v_dual_add_f32 v3, v14, v12 :: v_dual_add_f32 v4, v15, v13
	ds_store_b64 v5, v[3:4]
.LBB98_29:
	s_or_b32 exec_lo, exec_lo, s1
	s_delay_alu instid0(SALU_CYCLE_1)
	s_mov_b32 s1, exec_lo
	s_waitcnt lgkmcnt(0)
	s_barrier
	buffer_gl0_inv
	v_cmpx_gt_u32_e32 32, v0
	s_cbranch_execz .LBB98_31
; %bb.30:
	ds_load_2addr_b64 v[12:15], v5 offset1:32
	s_waitcnt lgkmcnt(0)
	v_dual_add_f32 v3, v14, v12 :: v_dual_add_f32 v4, v15, v13
	ds_store_b64 v5, v[3:4]
.LBB98_31:
	s_or_b32 exec_lo, exec_lo, s1
	s_waitcnt lgkmcnt(0)
	buffer_gl0_inv
	s_and_saveexec_b32 s0, vcc_lo
	s_delay_alu instid0(SALU_CYCLE_1)
	s_xor_b32 s0, exec_lo, s0
	s_cbranch_execz .LBB98_33
; %bb.32:
	buffer_gl0_inv
                                        ; implicit-def: $vgpr5
.LBB98_33:
	s_and_not1_saveexec_b32 s0, s0
	s_cbranch_execz .LBB98_35
; %bb.34:
	ds_load_2addr_b64 v[1:4], v5 offset1:16
	s_waitcnt lgkmcnt(0)
	v_dual_add_f32 v1, v3, v1 :: v_dual_add_f32 v2, v4, v2
	ds_store_b64 v5, v[1:2]
	s_waitcnt lgkmcnt(0)
	buffer_gl0_inv
	ds_load_b64 v[1:2], v5
.LBB98_35:
	s_or_b32 exec_lo, exec_lo, s0
	s_waitcnt lgkmcnt(0)
	v_dual_mov_b32 v4, v2 :: v_dual_mov_b32 v3, v1
.LBB98_36:
	v_cmp_gt_u32_e32 vcc_lo, 16, v0
	s_and_b32 exec_lo, exec_lo, vcc_lo
	s_cbranch_execz .LBB98_41
; %bb.37:
	s_waitcnt lgkmcnt(0)
	v_mul_f32_e64 v1, v4, -v11
	v_mul_f32_e32 v2, v4, v10
	v_cmp_eq_f32_e32 vcc_lo, 0, v8
	v_cmp_eq_f32_e64 s0, 0, v9
	s_delay_alu instid0(VALU_DEP_4) | instskip(NEXT) | instid1(VALU_DEP_4)
	v_fmac_f32_e32 v1, v10, v3
	v_fmac_f32_e32 v2, v11, v3
	v_lshl_or_b32 v3, s8, 4, v0
	s_delay_alu instid0(VALU_DEP_4) | instskip(NEXT) | instid1(SALU_CYCLE_1)
	s_and_b32 s0, vcc_lo, s0
	s_and_saveexec_b32 s1, s0
	s_delay_alu instid0(SALU_CYCLE_1)
	s_xor_b32 s0, exec_lo, s1
	s_cbranch_execz .LBB98_39
; %bb.38:
	v_mov_b32_e32 v4, 0
                                        ; implicit-def: $vgpr8
                                        ; implicit-def: $vgpr9
	s_delay_alu instid0(VALU_DEP_1) | instskip(NEXT) | instid1(VALU_DEP_1)
	v_lshlrev_b64 v[3:4], 3, v[3:4]
	v_add_co_u32 v3, vcc_lo, s2, v3
	s_delay_alu instid0(VALU_DEP_2)
	v_add_co_ci_u32_e32 v4, vcc_lo, s3, v4, vcc_lo
	global_store_b64 v[3:4], v[1:2], off
                                        ; implicit-def: $vgpr3
                                        ; implicit-def: $vgpr1
.LBB98_39:
	s_and_not1_saveexec_b32 s0, s0
	s_cbranch_execz .LBB98_41
; %bb.40:
	v_mov_b32_e32 v4, 0
	s_delay_alu instid0(VALU_DEP_1) | instskip(NEXT) | instid1(VALU_DEP_1)
	v_lshlrev_b64 v[3:4], 3, v[3:4]
	v_add_co_u32 v3, vcc_lo, s2, v3
	s_delay_alu instid0(VALU_DEP_2) | instskip(SKIP_4) | instid1(VALU_DEP_2)
	v_add_co_ci_u32_e32 v4, vcc_lo, s3, v4, vcc_lo
	global_load_b64 v[5:6], v[3:4], off
	s_waitcnt vmcnt(0)
	v_fmac_f32_e32 v1, v8, v5
	v_fmac_f32_e32 v2, v9, v5
	v_fma_f32 v1, -v9, v6, v1
	s_delay_alu instid0(VALU_DEP_2)
	v_fmac_f32_e32 v2, v8, v6
	global_store_b64 v[3:4], v[1:2], off
.LBB98_41:
	s_nop 0
	s_sendmsg sendmsg(MSG_DEALLOC_VGPRS)
	s_endpgm
	.section	.rodata,"a",@progbits
	.p2align	6, 0x0
	.amdhsa_kernel _ZN9rocsparseL22gebsrmvn_mxn_16_kernelILj80ELj16ELj5E21rocsparse_complex_numIfEEEvi20rocsparse_direction_NS_24const_host_device_scalarIT2_EEPKiS8_PKS5_iiSA_S6_PS5_21rocsparse_index_base_b
		.amdhsa_group_segment_fixed_size 640
		.amdhsa_private_segment_fixed_size 0
		.amdhsa_kernarg_size 80
		.amdhsa_user_sgpr_count 15
		.amdhsa_user_sgpr_dispatch_ptr 0
		.amdhsa_user_sgpr_queue_ptr 0
		.amdhsa_user_sgpr_kernarg_segment_ptr 1
		.amdhsa_user_sgpr_dispatch_id 0
		.amdhsa_user_sgpr_private_segment_size 0
		.amdhsa_wavefront_size32 1
		.amdhsa_uses_dynamic_stack 0
		.amdhsa_enable_private_segment 0
		.amdhsa_system_sgpr_workgroup_id_x 1
		.amdhsa_system_sgpr_workgroup_id_y 0
		.amdhsa_system_sgpr_workgroup_id_z 0
		.amdhsa_system_sgpr_workgroup_info 0
		.amdhsa_system_vgpr_workitem_id 0
		.amdhsa_next_free_vgpr 17
		.amdhsa_next_free_sgpr 16
		.amdhsa_reserve_vcc 1
		.amdhsa_float_round_mode_32 0
		.amdhsa_float_round_mode_16_64 0
		.amdhsa_float_denorm_mode_32 3
		.amdhsa_float_denorm_mode_16_64 3
		.amdhsa_dx10_clamp 1
		.amdhsa_ieee_mode 1
		.amdhsa_fp16_overflow 0
		.amdhsa_workgroup_processor_mode 1
		.amdhsa_memory_ordered 1
		.amdhsa_forward_progress 0
		.amdhsa_shared_vgpr_count 0
		.amdhsa_exception_fp_ieee_invalid_op 0
		.amdhsa_exception_fp_denorm_src 0
		.amdhsa_exception_fp_ieee_div_zero 0
		.amdhsa_exception_fp_ieee_overflow 0
		.amdhsa_exception_fp_ieee_underflow 0
		.amdhsa_exception_fp_ieee_inexact 0
		.amdhsa_exception_int_div_zero 0
	.end_amdhsa_kernel
	.section	.text._ZN9rocsparseL22gebsrmvn_mxn_16_kernelILj80ELj16ELj5E21rocsparse_complex_numIfEEEvi20rocsparse_direction_NS_24const_host_device_scalarIT2_EEPKiS8_PKS5_iiSA_S6_PS5_21rocsparse_index_base_b,"axG",@progbits,_ZN9rocsparseL22gebsrmvn_mxn_16_kernelILj80ELj16ELj5E21rocsparse_complex_numIfEEEvi20rocsparse_direction_NS_24const_host_device_scalarIT2_EEPKiS8_PKS5_iiSA_S6_PS5_21rocsparse_index_base_b,comdat
.Lfunc_end98:
	.size	_ZN9rocsparseL22gebsrmvn_mxn_16_kernelILj80ELj16ELj5E21rocsparse_complex_numIfEEEvi20rocsparse_direction_NS_24const_host_device_scalarIT2_EEPKiS8_PKS5_iiSA_S6_PS5_21rocsparse_index_base_b, .Lfunc_end98-_ZN9rocsparseL22gebsrmvn_mxn_16_kernelILj80ELj16ELj5E21rocsparse_complex_numIfEEEvi20rocsparse_direction_NS_24const_host_device_scalarIT2_EEPKiS8_PKS5_iiSA_S6_PS5_21rocsparse_index_base_b
                                        ; -- End function
	.section	.AMDGPU.csdata,"",@progbits
; Kernel info:
; codeLenInByte = 1528
; NumSgprs: 18
; NumVgprs: 17
; ScratchSize: 0
; MemoryBound: 0
; FloatMode: 240
; IeeeMode: 1
; LDSByteSize: 640 bytes/workgroup (compile time only)
; SGPRBlocks: 2
; VGPRBlocks: 2
; NumSGPRsForWavesPerEU: 18
; NumVGPRsForWavesPerEU: 17
; Occupancy: 16
; WaveLimiterHint : 1
; COMPUTE_PGM_RSRC2:SCRATCH_EN: 0
; COMPUTE_PGM_RSRC2:USER_SGPR: 15
; COMPUTE_PGM_RSRC2:TRAP_HANDLER: 0
; COMPUTE_PGM_RSRC2:TGID_X_EN: 1
; COMPUTE_PGM_RSRC2:TGID_Y_EN: 0
; COMPUTE_PGM_RSRC2:TGID_Z_EN: 0
; COMPUTE_PGM_RSRC2:TIDIG_COMP_CNT: 0
	.section	.text._ZN9rocsparseL22gebsrmvn_mxn_16_kernelILj96ELj16ELj6E21rocsparse_complex_numIfEEEvi20rocsparse_direction_NS_24const_host_device_scalarIT2_EEPKiS8_PKS5_iiSA_S6_PS5_21rocsparse_index_base_b,"axG",@progbits,_ZN9rocsparseL22gebsrmvn_mxn_16_kernelILj96ELj16ELj6E21rocsparse_complex_numIfEEEvi20rocsparse_direction_NS_24const_host_device_scalarIT2_EEPKiS8_PKS5_iiSA_S6_PS5_21rocsparse_index_base_b,comdat
	.globl	_ZN9rocsparseL22gebsrmvn_mxn_16_kernelILj96ELj16ELj6E21rocsparse_complex_numIfEEEvi20rocsparse_direction_NS_24const_host_device_scalarIT2_EEPKiS8_PKS5_iiSA_S6_PS5_21rocsparse_index_base_b ; -- Begin function _ZN9rocsparseL22gebsrmvn_mxn_16_kernelILj96ELj16ELj6E21rocsparse_complex_numIfEEEvi20rocsparse_direction_NS_24const_host_device_scalarIT2_EEPKiS8_PKS5_iiSA_S6_PS5_21rocsparse_index_base_b
	.p2align	8
	.type	_ZN9rocsparseL22gebsrmvn_mxn_16_kernelILj96ELj16ELj6E21rocsparse_complex_numIfEEEvi20rocsparse_direction_NS_24const_host_device_scalarIT2_EEPKiS8_PKS5_iiSA_S6_PS5_21rocsparse_index_base_b,@function
_ZN9rocsparseL22gebsrmvn_mxn_16_kernelILj96ELj16ELj6E21rocsparse_complex_numIfEEEvi20rocsparse_direction_NS_24const_host_device_scalarIT2_EEPKiS8_PKS5_iiSA_S6_PS5_21rocsparse_index_base_b: ; @_ZN9rocsparseL22gebsrmvn_mxn_16_kernelILj96ELj16ELj6E21rocsparse_complex_numIfEEEvi20rocsparse_direction_NS_24const_host_device_scalarIT2_EEPKiS8_PKS5_iiSA_S6_PS5_21rocsparse_index_base_b
; %bb.0:
	s_clause 0x2
	s_load_b64 s[10:11], s[0:1], 0x48
	s_load_b64 s[4:5], s[0:1], 0x8
	;; [unrolled: 1-line block ×3, first 2 shown]
	s_mov_b32 s8, s15
	s_waitcnt lgkmcnt(0)
	s_bitcmp1_b32 s11, 0
	v_mov_b32_e32 v10, s4
	s_cselect_b32 s6, -1, 0
	s_delay_alu instid0(SALU_CYCLE_1)
	s_and_b32 vcc_lo, exec_lo, s6
	s_xor_b32 s6, s6, -1
	s_cbranch_vccz .LBB99_13
; %bb.1:
	v_cndmask_b32_e64 v1, 0, 1, s6
	v_mov_b32_e32 v11, s5
	s_and_not1_b32 vcc_lo, exec_lo, s6
	s_cbranch_vccz .LBB99_14
.LBB99_2:
	s_delay_alu instid0(VALU_DEP_2)
	v_cmp_ne_u32_e32 vcc_lo, 1, v1
	v_mov_b32_e32 v8, s2
	s_cbranch_vccz .LBB99_15
.LBB99_3:
	v_cmp_ne_u32_e32 vcc_lo, 1, v1
	v_mov_b32_e32 v9, s3
	s_cbranch_vccnz .LBB99_5
.LBB99_4:
	v_dual_mov_b32 v1, s2 :: v_dual_mov_b32 v2, s3
	flat_load_b32 v9, v[1:2] offset:4
.LBB99_5:
	s_waitcnt vmcnt(0) lgkmcnt(0)
	v_cmp_eq_f32_e32 vcc_lo, 0, v10
	v_cmp_eq_f32_e64 s2, 0, v11
	s_delay_alu instid0(VALU_DEP_1)
	s_and_b32 s4, vcc_lo, s2
	s_mov_b32 s2, -1
	s_and_saveexec_b32 s3, s4
; %bb.6:
	v_cmp_neq_f32_e32 vcc_lo, 1.0, v8
	v_cmp_neq_f32_e64 s2, 0, v9
	s_delay_alu instid0(VALU_DEP_1) | instskip(NEXT) | instid1(SALU_CYCLE_1)
	s_or_b32 s2, vcc_lo, s2
	s_or_not1_b32 s2, s2, exec_lo
; %bb.7:
	s_or_b32 exec_lo, exec_lo, s3
	s_and_saveexec_b32 s3, s2
	s_cbranch_execz .LBB99_41
; %bb.8:
	s_clause 0x2
	s_load_b64 s[2:3], s[0:1], 0x40
	s_load_b32 s6, s[0:1], 0x4
	s_load_b64 s[4:5], s[0:1], 0x10
	v_mul_u32_u24_e32 v1, 0x2aab, v0
	v_mov_b32_e32 v2, 0
	s_delay_alu instid0(VALU_DEP_2) | instskip(NEXT) | instid1(VALU_DEP_1)
	v_lshrrev_b32_e32 v1, 16, v1
	v_mul_lo_u16 v1, v1, 6
	s_delay_alu instid0(VALU_DEP_1)
	v_sub_nc_u16 v12, v0, v1
	v_mov_b32_e32 v1, 0
	s_waitcnt lgkmcnt(0)
	s_cmp_eq_u32 s6, 1
	s_cselect_b32 vcc_lo, -1, 0
	s_cmp_lg_u32 s6, 1
	s_cselect_b32 s11, -1, 0
	s_ashr_i32 s9, s8, 31
	s_delay_alu instid0(SALU_CYCLE_1) | instskip(NEXT) | instid1(SALU_CYCLE_1)
	s_lshl_b64 s[6:7], s[8:9], 2
	s_add_u32 s4, s4, s6
	s_addc_u32 s5, s5, s7
	s_load_b64 s[12:13], s[4:5], 0x0
	s_waitcnt lgkmcnt(0)
	s_cmp_ge_i32 s12, s13
	s_cbranch_scc1 .LBB99_16
; %bb.9:
	v_lshrrev_b32_e32 v3, 4, v0
	s_clause 0x1
	s_load_b128 s[4:7], s[0:1], 0x18
	s_load_b64 s[0:1], s[0:1], 0x30
	v_and_b32_e32 v5, 0xffff, v0
	s_mul_i32 s9, s10, 0x60
	v_mul_lo_u16 v1, v3, 43
	s_delay_alu instid0(VALU_DEP_1) | instskip(NEXT) | instid1(VALU_DEP_1)
	v_lshrrev_b16 v1, 8, v1
	v_mul_lo_u16 v4, v1, 6
	v_mad_u64_u32 v[1:2], null, 0x60, s12, v[0:1]
	s_sub_i32 s12, s12, s10
	s_delay_alu instid0(VALU_DEP_2) | instskip(SKIP_1) | instid1(VALU_DEP_3)
	v_sub_nc_u16 v2, v3, v4
	v_mov_b32_e32 v4, 0
	v_subrev_nc_u32_e32 v3, s9, v1
	s_delay_alu instid0(VALU_DEP_3) | instskip(SKIP_3) | instid1(VALU_DEP_3)
	v_dual_mov_b32 v2, 0 :: v_dual_and_b32 v7, 0xff, v2
	v_and_b32_e32 v6, 0xffff, v12
	v_mul_u32_u24_e32 v5, 0x2ab, v5
	s_sub_i32 s9, s13, s10
	v_mov_b32_e32 v1, v2
	s_delay_alu instid0(VALU_DEP_2)
	v_lshrrev_b32_e32 v13, 16, v5
	v_cndmask_b32_e32 v5, v6, v7, vcc_lo
	s_set_inst_prefetch_distance 0x1
	s_branch .LBB99_11
	.p2align	6
.LBB99_10:                              ;   in Loop: Header=BB99_11 Depth=1
	s_or_b32 exec_lo, exec_lo, s13
	v_add_nc_u32_e32 v3, 0x60, v3
	s_add_i32 s12, s12, 1
	s_delay_alu instid0(SALU_CYCLE_1)
	s_cmp_ge_i32 s12, s9
	s_cbranch_scc1 .LBB99_16
.LBB99_11:                              ; =>This Inner Loop Header: Depth=1
	s_delay_alu instid0(VALU_DEP_2) | instskip(SKIP_1) | instid1(VALU_DEP_1)
	v_add_nc_u32_e32 v6, s12, v13
	s_mov_b32 s13, exec_lo
	v_cmpx_gt_i32_e64 s9, v6
	s_cbranch_execz .LBB99_10
; %bb.12:                               ;   in Loop: Header=BB99_11 Depth=1
	v_ashrrev_i32_e32 v7, 31, v6
	s_delay_alu instid0(VALU_DEP_1) | instskip(SKIP_1) | instid1(VALU_DEP_1)
	v_lshlrev_b64 v[6:7], 2, v[6:7]
	s_waitcnt lgkmcnt(0)
	v_add_co_u32 v6, vcc_lo, s4, v6
	s_delay_alu instid0(VALU_DEP_2) | instskip(SKIP_3) | instid1(VALU_DEP_1)
	v_add_co_ci_u32_e32 v7, vcc_lo, s5, v7, vcc_lo
	global_load_b32 v6, v[6:7], off
	s_waitcnt vmcnt(0)
	v_subrev_nc_u32_e32 v14, s10, v6
	v_mad_u64_u32 v[6:7], null, v14, 6, v[5:6]
	v_lshlrev_b64 v[14:15], 3, v[3:4]
	s_delay_alu instid0(VALU_DEP_1) | instskip(NEXT) | instid1(VALU_DEP_3)
	v_add_co_u32 v14, vcc_lo, s6, v14
	v_ashrrev_i32_e32 v7, 31, v6
	s_delay_alu instid0(VALU_DEP_3) | instskip(NEXT) | instid1(VALU_DEP_2)
	v_add_co_ci_u32_e32 v15, vcc_lo, s7, v15, vcc_lo
	v_lshlrev_b64 v[6:7], 3, v[6:7]
	s_delay_alu instid0(VALU_DEP_1) | instskip(NEXT) | instid1(VALU_DEP_2)
	v_add_co_u32 v6, vcc_lo, s0, v6
	v_add_co_ci_u32_e32 v7, vcc_lo, s1, v7, vcc_lo
	global_load_b64 v[14:15], v[14:15], off
	global_load_b64 v[6:7], v[6:7], off
	s_waitcnt vmcnt(0)
	v_fmac_f32_e32 v1, v14, v6
	v_fmac_f32_e32 v2, v15, v6
	s_delay_alu instid0(VALU_DEP_2) | instskip(NEXT) | instid1(VALU_DEP_2)
	v_fma_f32 v1, -v15, v7, v1
	v_fmac_f32_e32 v2, v14, v7
	s_branch .LBB99_10
.LBB99_13:
	v_dual_mov_b32 v1, s4 :: v_dual_mov_b32 v2, s5
	flat_load_b32 v10, v[1:2]
	v_cndmask_b32_e64 v1, 0, 1, s6
	v_mov_b32_e32 v11, s5
	s_and_not1_b32 vcc_lo, exec_lo, s6
	s_cbranch_vccnz .LBB99_2
.LBB99_14:
	v_dual_mov_b32 v2, s4 :: v_dual_mov_b32 v3, s5
	flat_load_b32 v11, v[2:3] offset:4
	v_cmp_ne_u32_e32 vcc_lo, 1, v1
	v_mov_b32_e32 v8, s2
	s_cbranch_vccnz .LBB99_3
.LBB99_15:
	v_dual_mov_b32 v2, s2 :: v_dual_mov_b32 v3, s3
	flat_load_b32 v8, v[2:3]
	v_cmp_ne_u32_e32 vcc_lo, 1, v1
	v_mov_b32_e32 v9, s3
	s_cbranch_vccz .LBB99_4
	s_branch .LBB99_5
.LBB99_16:
	s_set_inst_prefetch_distance 0x2
	v_lshlrev_b32_e32 v5, 3, v0
	s_and_b32 vcc_lo, exec_lo, s11
	ds_store_b64 v5, v[1:2]
	s_waitcnt lgkmcnt(0)
	s_barrier
	buffer_gl0_inv
	s_cbranch_vccz .LBB99_26
; %bb.17:
	v_cmp_gt_u16_e32 vcc_lo, 2, v12
	s_and_saveexec_b32 s0, vcc_lo
	s_cbranch_execz .LBB99_19
; %bb.18:
	ds_load_2addr_b64 v[13:16], v5 offset1:4
	s_waitcnt lgkmcnt(0)
	v_dual_add_f32 v3, v15, v13 :: v_dual_add_f32 v4, v16, v14
	ds_store_b64 v5, v[3:4]
.LBB99_19:
	s_or_b32 exec_lo, exec_lo, s0
	s_waitcnt lgkmcnt(0)
	s_barrier
	buffer_gl0_inv
	s_and_saveexec_b32 s0, vcc_lo
	s_cbranch_execz .LBB99_21
; %bb.20:
	ds_load_2addr_b64 v[13:16], v5 offset1:2
	s_waitcnt lgkmcnt(0)
	v_dual_add_f32 v3, v15, v13 :: v_dual_add_f32 v4, v16, v14
	ds_store_b64 v5, v[3:4]
.LBB99_21:
	s_or_b32 exec_lo, exec_lo, s0
	s_delay_alu instid0(SALU_CYCLE_1)
	s_mov_b32 s0, exec_lo
	s_waitcnt lgkmcnt(0)
	s_barrier
	buffer_gl0_inv
	v_cmpx_eq_u16_e32 0, v12
	s_cbranch_execz .LBB99_23
; %bb.22:
	ds_load_2addr_b64 v[12:15], v5 offset1:1
	s_waitcnt lgkmcnt(0)
	v_dual_add_f32 v3, v14, v12 :: v_dual_add_f32 v4, v15, v13
	ds_store_b64 v5, v[3:4]
.LBB99_23:
	s_or_b32 exec_lo, exec_lo, s0
	v_dual_mov_b32 v4, v2 :: v_dual_mov_b32 v3, v1
	s_mov_b32 s0, exec_lo
	s_waitcnt lgkmcnt(0)
	s_barrier
	buffer_gl0_inv
	v_cmpx_gt_u32_e32 16, v0
	s_cbranch_execz .LBB99_25
; %bb.24:
	v_mad_u32_u24 v3, v0, 40, v5
	ds_load_b64 v[3:4], v3
.LBB99_25:
	s_or_b32 exec_lo, exec_lo, s0
	s_branch .LBB99_36
.LBB99_26:
                                        ; implicit-def: $vgpr4
	s_cbranch_execz .LBB99_36
; %bb.27:
	v_cmp_gt_u32_e32 vcc_lo, 32, v0
	s_and_saveexec_b32 s0, vcc_lo
	s_cbranch_execz .LBB99_29
; %bb.28:
	ds_load_2addr_stride64_b64 v[12:15], v5 offset1:1
	s_waitcnt lgkmcnt(0)
	v_dual_add_f32 v3, v14, v12 :: v_dual_add_f32 v4, v15, v13
	ds_store_b64 v5, v[3:4]
.LBB99_29:
	s_or_b32 exec_lo, exec_lo, s0
	s_waitcnt lgkmcnt(0)
	s_barrier
	buffer_gl0_inv
	s_and_saveexec_b32 s0, vcc_lo
	s_cbranch_execz .LBB99_31
; %bb.30:
	ds_load_2addr_b64 v[12:15], v5 offset1:32
	s_waitcnt lgkmcnt(0)
	v_dual_add_f32 v3, v14, v12 :: v_dual_add_f32 v4, v15, v13
	ds_store_b64 v5, v[3:4]
.LBB99_31:
	s_or_b32 exec_lo, exec_lo, s0
	s_delay_alu instid0(SALU_CYCLE_1)
	s_mov_b32 s0, exec_lo
	s_waitcnt lgkmcnt(0)
	buffer_gl0_inv
	v_cmpx_lt_u32_e32 15, v0
	s_xor_b32 s0, exec_lo, s0
	s_cbranch_execz .LBB99_33
; %bb.32:
	buffer_gl0_inv
                                        ; implicit-def: $vgpr5
.LBB99_33:
	s_and_not1_saveexec_b32 s0, s0
	s_cbranch_execz .LBB99_35
; %bb.34:
	ds_load_2addr_b64 v[1:4], v5 offset1:16
	s_waitcnt lgkmcnt(0)
	v_dual_add_f32 v1, v3, v1 :: v_dual_add_f32 v2, v4, v2
	ds_store_b64 v5, v[1:2]
	s_waitcnt lgkmcnt(0)
	buffer_gl0_inv
	ds_load_b64 v[1:2], v5
.LBB99_35:
	s_or_b32 exec_lo, exec_lo, s0
	s_waitcnt lgkmcnt(0)
	v_dual_mov_b32 v4, v2 :: v_dual_mov_b32 v3, v1
.LBB99_36:
	v_cmp_gt_u32_e32 vcc_lo, 16, v0
	s_and_b32 exec_lo, exec_lo, vcc_lo
	s_cbranch_execz .LBB99_41
; %bb.37:
	s_waitcnt lgkmcnt(0)
	v_mul_f32_e64 v1, v4, -v11
	v_mul_f32_e32 v2, v4, v10
	v_cmp_eq_f32_e32 vcc_lo, 0, v8
	v_cmp_eq_f32_e64 s0, 0, v9
	s_delay_alu instid0(VALU_DEP_4) | instskip(NEXT) | instid1(VALU_DEP_4)
	v_fmac_f32_e32 v1, v10, v3
	v_fmac_f32_e32 v2, v11, v3
	v_lshl_or_b32 v3, s8, 4, v0
	s_delay_alu instid0(VALU_DEP_4) | instskip(NEXT) | instid1(SALU_CYCLE_1)
	s_and_b32 s0, vcc_lo, s0
	s_and_saveexec_b32 s1, s0
	s_delay_alu instid0(SALU_CYCLE_1)
	s_xor_b32 s0, exec_lo, s1
	s_cbranch_execz .LBB99_39
; %bb.38:
	v_mov_b32_e32 v4, 0
                                        ; implicit-def: $vgpr8
                                        ; implicit-def: $vgpr9
	s_delay_alu instid0(VALU_DEP_1) | instskip(NEXT) | instid1(VALU_DEP_1)
	v_lshlrev_b64 v[3:4], 3, v[3:4]
	v_add_co_u32 v3, vcc_lo, s2, v3
	s_delay_alu instid0(VALU_DEP_2)
	v_add_co_ci_u32_e32 v4, vcc_lo, s3, v4, vcc_lo
	global_store_b64 v[3:4], v[1:2], off
                                        ; implicit-def: $vgpr3
                                        ; implicit-def: $vgpr1
.LBB99_39:
	s_and_not1_saveexec_b32 s0, s0
	s_cbranch_execz .LBB99_41
; %bb.40:
	v_mov_b32_e32 v4, 0
	s_delay_alu instid0(VALU_DEP_1) | instskip(NEXT) | instid1(VALU_DEP_1)
	v_lshlrev_b64 v[3:4], 3, v[3:4]
	v_add_co_u32 v3, vcc_lo, s2, v3
	s_delay_alu instid0(VALU_DEP_2) | instskip(SKIP_4) | instid1(VALU_DEP_2)
	v_add_co_ci_u32_e32 v4, vcc_lo, s3, v4, vcc_lo
	global_load_b64 v[5:6], v[3:4], off
	s_waitcnt vmcnt(0)
	v_fmac_f32_e32 v1, v8, v5
	v_fmac_f32_e32 v2, v9, v5
	v_fma_f32 v1, -v9, v6, v1
	s_delay_alu instid0(VALU_DEP_2)
	v_fmac_f32_e32 v2, v8, v6
	global_store_b64 v[3:4], v[1:2], off
.LBB99_41:
	s_nop 0
	s_sendmsg sendmsg(MSG_DEALLOC_VGPRS)
	s_endpgm
	.section	.rodata,"a",@progbits
	.p2align	6, 0x0
	.amdhsa_kernel _ZN9rocsparseL22gebsrmvn_mxn_16_kernelILj96ELj16ELj6E21rocsparse_complex_numIfEEEvi20rocsparse_direction_NS_24const_host_device_scalarIT2_EEPKiS8_PKS5_iiSA_S6_PS5_21rocsparse_index_base_b
		.amdhsa_group_segment_fixed_size 768
		.amdhsa_private_segment_fixed_size 0
		.amdhsa_kernarg_size 80
		.amdhsa_user_sgpr_count 15
		.amdhsa_user_sgpr_dispatch_ptr 0
		.amdhsa_user_sgpr_queue_ptr 0
		.amdhsa_user_sgpr_kernarg_segment_ptr 1
		.amdhsa_user_sgpr_dispatch_id 0
		.amdhsa_user_sgpr_private_segment_size 0
		.amdhsa_wavefront_size32 1
		.amdhsa_uses_dynamic_stack 0
		.amdhsa_enable_private_segment 0
		.amdhsa_system_sgpr_workgroup_id_x 1
		.amdhsa_system_sgpr_workgroup_id_y 0
		.amdhsa_system_sgpr_workgroup_id_z 0
		.amdhsa_system_sgpr_workgroup_info 0
		.amdhsa_system_vgpr_workitem_id 0
		.amdhsa_next_free_vgpr 17
		.amdhsa_next_free_sgpr 16
		.amdhsa_reserve_vcc 1
		.amdhsa_float_round_mode_32 0
		.amdhsa_float_round_mode_16_64 0
		.amdhsa_float_denorm_mode_32 3
		.amdhsa_float_denorm_mode_16_64 3
		.amdhsa_dx10_clamp 1
		.amdhsa_ieee_mode 1
		.amdhsa_fp16_overflow 0
		.amdhsa_workgroup_processor_mode 1
		.amdhsa_memory_ordered 1
		.amdhsa_forward_progress 0
		.amdhsa_shared_vgpr_count 0
		.amdhsa_exception_fp_ieee_invalid_op 0
		.amdhsa_exception_fp_denorm_src 0
		.amdhsa_exception_fp_ieee_div_zero 0
		.amdhsa_exception_fp_ieee_overflow 0
		.amdhsa_exception_fp_ieee_underflow 0
		.amdhsa_exception_fp_ieee_inexact 0
		.amdhsa_exception_int_div_zero 0
	.end_amdhsa_kernel
	.section	.text._ZN9rocsparseL22gebsrmvn_mxn_16_kernelILj96ELj16ELj6E21rocsparse_complex_numIfEEEvi20rocsparse_direction_NS_24const_host_device_scalarIT2_EEPKiS8_PKS5_iiSA_S6_PS5_21rocsparse_index_base_b,"axG",@progbits,_ZN9rocsparseL22gebsrmvn_mxn_16_kernelILj96ELj16ELj6E21rocsparse_complex_numIfEEEvi20rocsparse_direction_NS_24const_host_device_scalarIT2_EEPKiS8_PKS5_iiSA_S6_PS5_21rocsparse_index_base_b,comdat
.Lfunc_end99:
	.size	_ZN9rocsparseL22gebsrmvn_mxn_16_kernelILj96ELj16ELj6E21rocsparse_complex_numIfEEEvi20rocsparse_direction_NS_24const_host_device_scalarIT2_EEPKiS8_PKS5_iiSA_S6_PS5_21rocsparse_index_base_b, .Lfunc_end99-_ZN9rocsparseL22gebsrmvn_mxn_16_kernelILj96ELj16ELj6E21rocsparse_complex_numIfEEEvi20rocsparse_direction_NS_24const_host_device_scalarIT2_EEPKiS8_PKS5_iiSA_S6_PS5_21rocsparse_index_base_b
                                        ; -- End function
	.section	.AMDGPU.csdata,"",@progbits
; Kernel info:
; codeLenInByte = 1504
; NumSgprs: 18
; NumVgprs: 17
; ScratchSize: 0
; MemoryBound: 0
; FloatMode: 240
; IeeeMode: 1
; LDSByteSize: 768 bytes/workgroup (compile time only)
; SGPRBlocks: 2
; VGPRBlocks: 2
; NumSGPRsForWavesPerEU: 18
; NumVGPRsForWavesPerEU: 17
; Occupancy: 16
; WaveLimiterHint : 1
; COMPUTE_PGM_RSRC2:SCRATCH_EN: 0
; COMPUTE_PGM_RSRC2:USER_SGPR: 15
; COMPUTE_PGM_RSRC2:TRAP_HANDLER: 0
; COMPUTE_PGM_RSRC2:TGID_X_EN: 1
; COMPUTE_PGM_RSRC2:TGID_Y_EN: 0
; COMPUTE_PGM_RSRC2:TGID_Z_EN: 0
; COMPUTE_PGM_RSRC2:TIDIG_COMP_CNT: 0
	.section	.text._ZN9rocsparseL22gebsrmvn_mxn_16_kernelILj112ELj16ELj7E21rocsparse_complex_numIfEEEvi20rocsparse_direction_NS_24const_host_device_scalarIT2_EEPKiS8_PKS5_iiSA_S6_PS5_21rocsparse_index_base_b,"axG",@progbits,_ZN9rocsparseL22gebsrmvn_mxn_16_kernelILj112ELj16ELj7E21rocsparse_complex_numIfEEEvi20rocsparse_direction_NS_24const_host_device_scalarIT2_EEPKiS8_PKS5_iiSA_S6_PS5_21rocsparse_index_base_b,comdat
	.globl	_ZN9rocsparseL22gebsrmvn_mxn_16_kernelILj112ELj16ELj7E21rocsparse_complex_numIfEEEvi20rocsparse_direction_NS_24const_host_device_scalarIT2_EEPKiS8_PKS5_iiSA_S6_PS5_21rocsparse_index_base_b ; -- Begin function _ZN9rocsparseL22gebsrmvn_mxn_16_kernelILj112ELj16ELj7E21rocsparse_complex_numIfEEEvi20rocsparse_direction_NS_24const_host_device_scalarIT2_EEPKiS8_PKS5_iiSA_S6_PS5_21rocsparse_index_base_b
	.p2align	8
	.type	_ZN9rocsparseL22gebsrmvn_mxn_16_kernelILj112ELj16ELj7E21rocsparse_complex_numIfEEEvi20rocsparse_direction_NS_24const_host_device_scalarIT2_EEPKiS8_PKS5_iiSA_S6_PS5_21rocsparse_index_base_b,@function
_ZN9rocsparseL22gebsrmvn_mxn_16_kernelILj112ELj16ELj7E21rocsparse_complex_numIfEEEvi20rocsparse_direction_NS_24const_host_device_scalarIT2_EEPKiS8_PKS5_iiSA_S6_PS5_21rocsparse_index_base_b: ; @_ZN9rocsparseL22gebsrmvn_mxn_16_kernelILj112ELj16ELj7E21rocsparse_complex_numIfEEEvi20rocsparse_direction_NS_24const_host_device_scalarIT2_EEPKiS8_PKS5_iiSA_S6_PS5_21rocsparse_index_base_b
; %bb.0:
	s_clause 0x2
	s_load_b64 s[10:11], s[0:1], 0x48
	s_load_b64 s[4:5], s[0:1], 0x8
	;; [unrolled: 1-line block ×3, first 2 shown]
	s_mov_b32 s8, s15
	s_waitcnt lgkmcnt(0)
	s_bitcmp1_b32 s11, 0
	v_mov_b32_e32 v10, s4
	s_cselect_b32 s6, -1, 0
	s_delay_alu instid0(SALU_CYCLE_1)
	s_and_b32 vcc_lo, exec_lo, s6
	s_xor_b32 s6, s6, -1
	s_cbranch_vccz .LBB100_13
; %bb.1:
	v_cndmask_b32_e64 v1, 0, 1, s6
	v_mov_b32_e32 v11, s5
	s_and_not1_b32 vcc_lo, exec_lo, s6
	s_cbranch_vccz .LBB100_14
.LBB100_2:
	s_delay_alu instid0(VALU_DEP_2)
	v_cmp_ne_u32_e32 vcc_lo, 1, v1
	v_mov_b32_e32 v8, s2
	s_cbranch_vccz .LBB100_15
.LBB100_3:
	v_cmp_ne_u32_e32 vcc_lo, 1, v1
	v_mov_b32_e32 v9, s3
	s_cbranch_vccnz .LBB100_5
.LBB100_4:
	v_dual_mov_b32 v1, s2 :: v_dual_mov_b32 v2, s3
	flat_load_b32 v9, v[1:2] offset:4
.LBB100_5:
	s_waitcnt vmcnt(0) lgkmcnt(0)
	v_cmp_eq_f32_e32 vcc_lo, 0, v10
	v_cmp_eq_f32_e64 s2, 0, v11
	s_delay_alu instid0(VALU_DEP_1)
	s_and_b32 s4, vcc_lo, s2
	s_mov_b32 s2, -1
	s_and_saveexec_b32 s3, s4
; %bb.6:
	v_cmp_neq_f32_e32 vcc_lo, 1.0, v8
	v_cmp_neq_f32_e64 s2, 0, v9
	s_delay_alu instid0(VALU_DEP_1) | instskip(NEXT) | instid1(SALU_CYCLE_1)
	s_or_b32 s2, vcc_lo, s2
	s_or_not1_b32 s2, s2, exec_lo
; %bb.7:
	s_or_b32 exec_lo, exec_lo, s3
	s_and_saveexec_b32 s3, s2
	s_cbranch_execz .LBB100_41
; %bb.8:
	s_clause 0x2
	s_load_b64 s[2:3], s[0:1], 0x40
	s_load_b32 s6, s[0:1], 0x4
	s_load_b64 s[4:5], s[0:1], 0x10
	v_mul_u32_u24_e32 v1, 0x2493, v0
	v_mov_b32_e32 v2, 0
	s_delay_alu instid0(VALU_DEP_2) | instskip(NEXT) | instid1(VALU_DEP_1)
	v_lshrrev_b32_e32 v1, 16, v1
	v_mul_lo_u16 v1, v1, 7
	s_delay_alu instid0(VALU_DEP_1)
	v_sub_nc_u16 v12, v0, v1
	v_mov_b32_e32 v1, 0
	s_waitcnt lgkmcnt(0)
	s_cmp_eq_u32 s6, 1
	s_cselect_b32 vcc_lo, -1, 0
	s_cmp_lg_u32 s6, 1
	s_cselect_b32 s11, -1, 0
	s_ashr_i32 s9, s8, 31
	s_delay_alu instid0(SALU_CYCLE_1) | instskip(NEXT) | instid1(SALU_CYCLE_1)
	s_lshl_b64 s[6:7], s[8:9], 2
	s_add_u32 s4, s4, s6
	s_addc_u32 s5, s5, s7
	s_load_b64 s[12:13], s[4:5], 0x0
	s_waitcnt lgkmcnt(0)
	s_cmp_ge_i32 s12, s13
	s_cbranch_scc1 .LBB100_16
; %bb.9:
	v_lshrrev_b32_e32 v3, 4, v0
	s_clause 0x1
	s_load_b128 s[4:7], s[0:1], 0x18
	s_load_b64 s[0:1], s[0:1], 0x30
	v_and_b32_e32 v5, 0xffff, v0
	s_mul_i32 s9, s10, 0x70
	v_mul_lo_u16 v1, v3, 37
	s_delay_alu instid0(VALU_DEP_1) | instskip(NEXT) | instid1(VALU_DEP_1)
	v_lshrrev_b16 v1, 8, v1
	v_mul_lo_u16 v4, v1, 7
	v_mad_u64_u32 v[1:2], null, 0x70, s12, v[0:1]
	s_sub_i32 s12, s12, s10
	s_delay_alu instid0(VALU_DEP_2) | instskip(SKIP_1) | instid1(VALU_DEP_3)
	v_sub_nc_u16 v2, v3, v4
	v_mov_b32_e32 v4, 0
	v_subrev_nc_u32_e32 v3, s9, v1
	s_delay_alu instid0(VALU_DEP_3) | instskip(SKIP_3) | instid1(VALU_DEP_3)
	v_dual_mov_b32 v2, 0 :: v_dual_and_b32 v7, 0xff, v2
	v_and_b32_e32 v6, 0xffff, v12
	v_mul_u32_u24_e32 v5, 0x24a, v5
	s_sub_i32 s9, s13, s10
	v_mov_b32_e32 v1, v2
	s_delay_alu instid0(VALU_DEP_2)
	v_lshrrev_b32_e32 v13, 16, v5
	v_cndmask_b32_e32 v5, v6, v7, vcc_lo
	s_set_inst_prefetch_distance 0x1
	s_branch .LBB100_11
	.p2align	6
.LBB100_10:                             ;   in Loop: Header=BB100_11 Depth=1
	s_or_b32 exec_lo, exec_lo, s13
	v_add_nc_u32_e32 v3, 0x70, v3
	s_add_i32 s12, s12, 1
	s_delay_alu instid0(SALU_CYCLE_1)
	s_cmp_ge_i32 s12, s9
	s_cbranch_scc1 .LBB100_16
.LBB100_11:                             ; =>This Inner Loop Header: Depth=1
	s_delay_alu instid0(VALU_DEP_2) | instskip(SKIP_1) | instid1(VALU_DEP_1)
	v_add_nc_u32_e32 v6, s12, v13
	s_mov_b32 s13, exec_lo
	v_cmpx_gt_i32_e64 s9, v6
	s_cbranch_execz .LBB100_10
; %bb.12:                               ;   in Loop: Header=BB100_11 Depth=1
	v_ashrrev_i32_e32 v7, 31, v6
	s_delay_alu instid0(VALU_DEP_1) | instskip(SKIP_1) | instid1(VALU_DEP_1)
	v_lshlrev_b64 v[6:7], 2, v[6:7]
	s_waitcnt lgkmcnt(0)
	v_add_co_u32 v6, vcc_lo, s4, v6
	s_delay_alu instid0(VALU_DEP_2) | instskip(SKIP_3) | instid1(VALU_DEP_1)
	v_add_co_ci_u32_e32 v7, vcc_lo, s5, v7, vcc_lo
	global_load_b32 v6, v[6:7], off
	s_waitcnt vmcnt(0)
	v_subrev_nc_u32_e32 v14, s10, v6
	v_mad_u64_u32 v[6:7], null, v14, 7, v[5:6]
	v_lshlrev_b64 v[14:15], 3, v[3:4]
	s_delay_alu instid0(VALU_DEP_1) | instskip(NEXT) | instid1(VALU_DEP_3)
	v_add_co_u32 v14, vcc_lo, s6, v14
	v_ashrrev_i32_e32 v7, 31, v6
	s_delay_alu instid0(VALU_DEP_3) | instskip(NEXT) | instid1(VALU_DEP_2)
	v_add_co_ci_u32_e32 v15, vcc_lo, s7, v15, vcc_lo
	v_lshlrev_b64 v[6:7], 3, v[6:7]
	s_delay_alu instid0(VALU_DEP_1) | instskip(NEXT) | instid1(VALU_DEP_2)
	v_add_co_u32 v6, vcc_lo, s0, v6
	v_add_co_ci_u32_e32 v7, vcc_lo, s1, v7, vcc_lo
	global_load_b64 v[14:15], v[14:15], off
	global_load_b64 v[6:7], v[6:7], off
	s_waitcnt vmcnt(0)
	v_fmac_f32_e32 v1, v14, v6
	v_fmac_f32_e32 v2, v15, v6
	s_delay_alu instid0(VALU_DEP_2) | instskip(NEXT) | instid1(VALU_DEP_2)
	v_fma_f32 v1, -v15, v7, v1
	v_fmac_f32_e32 v2, v14, v7
	s_branch .LBB100_10
.LBB100_13:
	v_dual_mov_b32 v1, s4 :: v_dual_mov_b32 v2, s5
	flat_load_b32 v10, v[1:2]
	v_cndmask_b32_e64 v1, 0, 1, s6
	v_mov_b32_e32 v11, s5
	s_and_not1_b32 vcc_lo, exec_lo, s6
	s_cbranch_vccnz .LBB100_2
.LBB100_14:
	v_dual_mov_b32 v2, s4 :: v_dual_mov_b32 v3, s5
	flat_load_b32 v11, v[2:3] offset:4
	v_cmp_ne_u32_e32 vcc_lo, 1, v1
	v_mov_b32_e32 v8, s2
	s_cbranch_vccnz .LBB100_3
.LBB100_15:
	v_dual_mov_b32 v2, s2 :: v_dual_mov_b32 v3, s3
	flat_load_b32 v8, v[2:3]
	v_cmp_ne_u32_e32 vcc_lo, 1, v1
	v_mov_b32_e32 v9, s3
	s_cbranch_vccz .LBB100_4
	s_branch .LBB100_5
.LBB100_16:
	s_set_inst_prefetch_distance 0x2
	v_lshlrev_b32_e32 v5, 3, v0
	s_and_b32 vcc_lo, exec_lo, s11
	ds_store_b64 v5, v[1:2]
	s_waitcnt lgkmcnt(0)
	s_barrier
	buffer_gl0_inv
	s_cbranch_vccz .LBB100_26
; %bb.17:
	s_mov_b32 s0, exec_lo
	v_cmpx_gt_u16_e32 3, v12
	s_cbranch_execz .LBB100_19
; %bb.18:
	ds_load_2addr_b64 v[13:16], v5 offset1:4
	s_waitcnt lgkmcnt(0)
	v_dual_add_f32 v3, v15, v13 :: v_dual_add_f32 v4, v16, v14
	ds_store_b64 v5, v[3:4]
.LBB100_19:
	s_or_b32 exec_lo, exec_lo, s0
	s_delay_alu instid0(SALU_CYCLE_1)
	s_mov_b32 s0, exec_lo
	s_waitcnt lgkmcnt(0)
	s_barrier
	buffer_gl0_inv
	v_cmpx_gt_u16_e32 2, v12
	s_cbranch_execz .LBB100_21
; %bb.20:
	ds_load_2addr_b64 v[13:16], v5 offset1:2
	s_waitcnt lgkmcnt(0)
	v_dual_add_f32 v3, v15, v13 :: v_dual_add_f32 v4, v16, v14
	ds_store_b64 v5, v[3:4]
.LBB100_21:
	s_or_b32 exec_lo, exec_lo, s0
	s_delay_alu instid0(SALU_CYCLE_1)
	s_mov_b32 s0, exec_lo
	s_waitcnt lgkmcnt(0)
	s_barrier
	buffer_gl0_inv
	v_cmpx_eq_u16_e32 0, v12
	s_cbranch_execz .LBB100_23
; %bb.22:
	ds_load_2addr_b64 v[12:15], v5 offset1:1
	s_waitcnt lgkmcnt(0)
	v_dual_add_f32 v3, v14, v12 :: v_dual_add_f32 v4, v15, v13
	ds_store_b64 v5, v[3:4]
.LBB100_23:
	s_or_b32 exec_lo, exec_lo, s0
	v_dual_mov_b32 v4, v2 :: v_dual_mov_b32 v3, v1
	s_mov_b32 s0, exec_lo
	s_waitcnt lgkmcnt(0)
	s_barrier
	buffer_gl0_inv
	v_cmpx_gt_u32_e32 16, v0
	s_cbranch_execz .LBB100_25
; %bb.24:
	v_mad_u32_u24 v3, v0, 48, v5
	ds_load_b64 v[3:4], v3
.LBB100_25:
	s_or_b32 exec_lo, exec_lo, s0
	s_branch .LBB100_36
.LBB100_26:
                                        ; implicit-def: $vgpr4
	s_cbranch_execz .LBB100_36
; %bb.27:
	s_mov_b32 s0, exec_lo
	v_cmpx_gt_u32_e32 48, v0
	s_cbranch_execz .LBB100_29
; %bb.28:
	ds_load_2addr_stride64_b64 v[12:15], v5 offset1:1
	s_waitcnt lgkmcnt(0)
	v_dual_add_f32 v3, v14, v12 :: v_dual_add_f32 v4, v15, v13
	ds_store_b64 v5, v[3:4]
.LBB100_29:
	s_or_b32 exec_lo, exec_lo, s0
	s_delay_alu instid0(SALU_CYCLE_1)
	s_mov_b32 s0, exec_lo
	s_waitcnt lgkmcnt(0)
	s_barrier
	buffer_gl0_inv
	v_cmpx_gt_u32_e32 32, v0
	s_cbranch_execz .LBB100_31
; %bb.30:
	ds_load_2addr_b64 v[12:15], v5 offset1:32
	s_waitcnt lgkmcnt(0)
	v_dual_add_f32 v3, v14, v12 :: v_dual_add_f32 v4, v15, v13
	ds_store_b64 v5, v[3:4]
.LBB100_31:
	s_or_b32 exec_lo, exec_lo, s0
	s_delay_alu instid0(SALU_CYCLE_1)
	s_mov_b32 s0, exec_lo
	s_waitcnt lgkmcnt(0)
	buffer_gl0_inv
	v_cmpx_lt_u32_e32 15, v0
	s_xor_b32 s0, exec_lo, s0
	s_cbranch_execz .LBB100_33
; %bb.32:
	buffer_gl0_inv
                                        ; implicit-def: $vgpr5
.LBB100_33:
	s_and_not1_saveexec_b32 s0, s0
	s_cbranch_execz .LBB100_35
; %bb.34:
	ds_load_2addr_b64 v[1:4], v5 offset1:16
	s_waitcnt lgkmcnt(0)
	v_dual_add_f32 v1, v3, v1 :: v_dual_add_f32 v2, v4, v2
	ds_store_b64 v5, v[1:2]
	s_waitcnt lgkmcnt(0)
	buffer_gl0_inv
	ds_load_b64 v[1:2], v5
.LBB100_35:
	s_or_b32 exec_lo, exec_lo, s0
	s_waitcnt lgkmcnt(0)
	v_dual_mov_b32 v4, v2 :: v_dual_mov_b32 v3, v1
.LBB100_36:
	v_cmp_gt_u32_e32 vcc_lo, 16, v0
	s_and_b32 exec_lo, exec_lo, vcc_lo
	s_cbranch_execz .LBB100_41
; %bb.37:
	s_waitcnt lgkmcnt(0)
	v_mul_f32_e64 v1, v4, -v11
	v_mul_f32_e32 v2, v4, v10
	v_cmp_eq_f32_e32 vcc_lo, 0, v8
	v_cmp_eq_f32_e64 s0, 0, v9
	s_delay_alu instid0(VALU_DEP_4) | instskip(NEXT) | instid1(VALU_DEP_4)
	v_fmac_f32_e32 v1, v10, v3
	v_fmac_f32_e32 v2, v11, v3
	v_lshl_or_b32 v3, s8, 4, v0
	s_delay_alu instid0(VALU_DEP_4) | instskip(NEXT) | instid1(SALU_CYCLE_1)
	s_and_b32 s0, vcc_lo, s0
	s_and_saveexec_b32 s1, s0
	s_delay_alu instid0(SALU_CYCLE_1)
	s_xor_b32 s0, exec_lo, s1
	s_cbranch_execz .LBB100_39
; %bb.38:
	v_mov_b32_e32 v4, 0
                                        ; implicit-def: $vgpr8
                                        ; implicit-def: $vgpr9
	s_delay_alu instid0(VALU_DEP_1) | instskip(NEXT) | instid1(VALU_DEP_1)
	v_lshlrev_b64 v[3:4], 3, v[3:4]
	v_add_co_u32 v3, vcc_lo, s2, v3
	s_delay_alu instid0(VALU_DEP_2)
	v_add_co_ci_u32_e32 v4, vcc_lo, s3, v4, vcc_lo
	global_store_b64 v[3:4], v[1:2], off
                                        ; implicit-def: $vgpr3
                                        ; implicit-def: $vgpr1
.LBB100_39:
	s_and_not1_saveexec_b32 s0, s0
	s_cbranch_execz .LBB100_41
; %bb.40:
	v_mov_b32_e32 v4, 0
	s_delay_alu instid0(VALU_DEP_1) | instskip(NEXT) | instid1(VALU_DEP_1)
	v_lshlrev_b64 v[3:4], 3, v[3:4]
	v_add_co_u32 v3, vcc_lo, s2, v3
	s_delay_alu instid0(VALU_DEP_2) | instskip(SKIP_4) | instid1(VALU_DEP_2)
	v_add_co_ci_u32_e32 v4, vcc_lo, s3, v4, vcc_lo
	global_load_b64 v[5:6], v[3:4], off
	s_waitcnt vmcnt(0)
	v_fmac_f32_e32 v1, v8, v5
	v_fmac_f32_e32 v2, v9, v5
	v_fma_f32 v1, -v9, v6, v1
	s_delay_alu instid0(VALU_DEP_2)
	v_fmac_f32_e32 v2, v8, v6
	global_store_b64 v[3:4], v[1:2], off
.LBB100_41:
	s_nop 0
	s_sendmsg sendmsg(MSG_DEALLOC_VGPRS)
	s_endpgm
	.section	.rodata,"a",@progbits
	.p2align	6, 0x0
	.amdhsa_kernel _ZN9rocsparseL22gebsrmvn_mxn_16_kernelILj112ELj16ELj7E21rocsparse_complex_numIfEEEvi20rocsparse_direction_NS_24const_host_device_scalarIT2_EEPKiS8_PKS5_iiSA_S6_PS5_21rocsparse_index_base_b
		.amdhsa_group_segment_fixed_size 896
		.amdhsa_private_segment_fixed_size 0
		.amdhsa_kernarg_size 80
		.amdhsa_user_sgpr_count 15
		.amdhsa_user_sgpr_dispatch_ptr 0
		.amdhsa_user_sgpr_queue_ptr 0
		.amdhsa_user_sgpr_kernarg_segment_ptr 1
		.amdhsa_user_sgpr_dispatch_id 0
		.amdhsa_user_sgpr_private_segment_size 0
		.amdhsa_wavefront_size32 1
		.amdhsa_uses_dynamic_stack 0
		.amdhsa_enable_private_segment 0
		.amdhsa_system_sgpr_workgroup_id_x 1
		.amdhsa_system_sgpr_workgroup_id_y 0
		.amdhsa_system_sgpr_workgroup_id_z 0
		.amdhsa_system_sgpr_workgroup_info 0
		.amdhsa_system_vgpr_workitem_id 0
		.amdhsa_next_free_vgpr 17
		.amdhsa_next_free_sgpr 16
		.amdhsa_reserve_vcc 1
		.amdhsa_float_round_mode_32 0
		.amdhsa_float_round_mode_16_64 0
		.amdhsa_float_denorm_mode_32 3
		.amdhsa_float_denorm_mode_16_64 3
		.amdhsa_dx10_clamp 1
		.amdhsa_ieee_mode 1
		.amdhsa_fp16_overflow 0
		.amdhsa_workgroup_processor_mode 1
		.amdhsa_memory_ordered 1
		.amdhsa_forward_progress 0
		.amdhsa_shared_vgpr_count 0
		.amdhsa_exception_fp_ieee_invalid_op 0
		.amdhsa_exception_fp_denorm_src 0
		.amdhsa_exception_fp_ieee_div_zero 0
		.amdhsa_exception_fp_ieee_overflow 0
		.amdhsa_exception_fp_ieee_underflow 0
		.amdhsa_exception_fp_ieee_inexact 0
		.amdhsa_exception_int_div_zero 0
	.end_amdhsa_kernel
	.section	.text._ZN9rocsparseL22gebsrmvn_mxn_16_kernelILj112ELj16ELj7E21rocsparse_complex_numIfEEEvi20rocsparse_direction_NS_24const_host_device_scalarIT2_EEPKiS8_PKS5_iiSA_S6_PS5_21rocsparse_index_base_b,"axG",@progbits,_ZN9rocsparseL22gebsrmvn_mxn_16_kernelILj112ELj16ELj7E21rocsparse_complex_numIfEEEvi20rocsparse_direction_NS_24const_host_device_scalarIT2_EEPKiS8_PKS5_iiSA_S6_PS5_21rocsparse_index_base_b,comdat
.Lfunc_end100:
	.size	_ZN9rocsparseL22gebsrmvn_mxn_16_kernelILj112ELj16ELj7E21rocsparse_complex_numIfEEEvi20rocsparse_direction_NS_24const_host_device_scalarIT2_EEPKiS8_PKS5_iiSA_S6_PS5_21rocsparse_index_base_b, .Lfunc_end100-_ZN9rocsparseL22gebsrmvn_mxn_16_kernelILj112ELj16ELj7E21rocsparse_complex_numIfEEEvi20rocsparse_direction_NS_24const_host_device_scalarIT2_EEPKiS8_PKS5_iiSA_S6_PS5_21rocsparse_index_base_b
                                        ; -- End function
	.section	.AMDGPU.csdata,"",@progbits
; Kernel info:
; codeLenInByte = 1520
; NumSgprs: 18
; NumVgprs: 17
; ScratchSize: 0
; MemoryBound: 0
; FloatMode: 240
; IeeeMode: 1
; LDSByteSize: 896 bytes/workgroup (compile time only)
; SGPRBlocks: 2
; VGPRBlocks: 2
; NumSGPRsForWavesPerEU: 18
; NumVGPRsForWavesPerEU: 17
; Occupancy: 16
; WaveLimiterHint : 1
; COMPUTE_PGM_RSRC2:SCRATCH_EN: 0
; COMPUTE_PGM_RSRC2:USER_SGPR: 15
; COMPUTE_PGM_RSRC2:TRAP_HANDLER: 0
; COMPUTE_PGM_RSRC2:TGID_X_EN: 1
; COMPUTE_PGM_RSRC2:TGID_Y_EN: 0
; COMPUTE_PGM_RSRC2:TGID_Z_EN: 0
; COMPUTE_PGM_RSRC2:TIDIG_COMP_CNT: 0
	.section	.text._ZN9rocsparseL22gebsrmvn_mxn_16_kernelILj128ELj16ELj8E21rocsparse_complex_numIfEEEvi20rocsparse_direction_NS_24const_host_device_scalarIT2_EEPKiS8_PKS5_iiSA_S6_PS5_21rocsparse_index_base_b,"axG",@progbits,_ZN9rocsparseL22gebsrmvn_mxn_16_kernelILj128ELj16ELj8E21rocsparse_complex_numIfEEEvi20rocsparse_direction_NS_24const_host_device_scalarIT2_EEPKiS8_PKS5_iiSA_S6_PS5_21rocsparse_index_base_b,comdat
	.globl	_ZN9rocsparseL22gebsrmvn_mxn_16_kernelILj128ELj16ELj8E21rocsparse_complex_numIfEEEvi20rocsparse_direction_NS_24const_host_device_scalarIT2_EEPKiS8_PKS5_iiSA_S6_PS5_21rocsparse_index_base_b ; -- Begin function _ZN9rocsparseL22gebsrmvn_mxn_16_kernelILj128ELj16ELj8E21rocsparse_complex_numIfEEEvi20rocsparse_direction_NS_24const_host_device_scalarIT2_EEPKiS8_PKS5_iiSA_S6_PS5_21rocsparse_index_base_b
	.p2align	8
	.type	_ZN9rocsparseL22gebsrmvn_mxn_16_kernelILj128ELj16ELj8E21rocsparse_complex_numIfEEEvi20rocsparse_direction_NS_24const_host_device_scalarIT2_EEPKiS8_PKS5_iiSA_S6_PS5_21rocsparse_index_base_b,@function
_ZN9rocsparseL22gebsrmvn_mxn_16_kernelILj128ELj16ELj8E21rocsparse_complex_numIfEEEvi20rocsparse_direction_NS_24const_host_device_scalarIT2_EEPKiS8_PKS5_iiSA_S6_PS5_21rocsparse_index_base_b: ; @_ZN9rocsparseL22gebsrmvn_mxn_16_kernelILj128ELj16ELj8E21rocsparse_complex_numIfEEEvi20rocsparse_direction_NS_24const_host_device_scalarIT2_EEPKiS8_PKS5_iiSA_S6_PS5_21rocsparse_index_base_b
; %bb.0:
	s_clause 0x2
	s_load_b64 s[10:11], s[0:1], 0x48
	s_load_b64 s[4:5], s[0:1], 0x8
	s_load_b64 s[2:3], s[0:1], 0x38
	s_mov_b32 s8, s15
	s_waitcnt lgkmcnt(0)
	s_bitcmp1_b32 s11, 0
	v_mov_b32_e32 v7, s4
	s_cselect_b32 s6, -1, 0
	s_delay_alu instid0(SALU_CYCLE_1)
	s_and_b32 vcc_lo, exec_lo, s6
	s_xor_b32 s6, s6, -1
	s_cbranch_vccz .LBB101_13
; %bb.1:
	v_cndmask_b32_e64 v1, 0, 1, s6
	v_mov_b32_e32 v8, s5
	s_and_not1_b32 vcc_lo, exec_lo, s6
	s_cbranch_vccz .LBB101_14
.LBB101_2:
	s_delay_alu instid0(VALU_DEP_2)
	v_cmp_ne_u32_e32 vcc_lo, 1, v1
	v_mov_b32_e32 v5, s2
	s_cbranch_vccz .LBB101_15
.LBB101_3:
	v_cmp_ne_u32_e32 vcc_lo, 1, v1
	v_mov_b32_e32 v6, s3
	s_cbranch_vccnz .LBB101_5
.LBB101_4:
	v_dual_mov_b32 v1, s2 :: v_dual_mov_b32 v2, s3
	flat_load_b32 v6, v[1:2] offset:4
.LBB101_5:
	s_waitcnt vmcnt(0) lgkmcnt(0)
	v_cmp_eq_f32_e32 vcc_lo, 0, v7
	v_cmp_eq_f32_e64 s2, 0, v8
	s_delay_alu instid0(VALU_DEP_1)
	s_and_b32 s4, vcc_lo, s2
	s_mov_b32 s2, -1
	s_and_saveexec_b32 s3, s4
; %bb.6:
	v_cmp_neq_f32_e32 vcc_lo, 1.0, v5
	v_cmp_neq_f32_e64 s2, 0, v6
	s_delay_alu instid0(VALU_DEP_1) | instskip(NEXT) | instid1(SALU_CYCLE_1)
	s_or_b32 s2, vcc_lo, s2
	s_or_not1_b32 s2, s2, exec_lo
; %bb.7:
	s_or_b32 exec_lo, exec_lo, s3
	s_and_saveexec_b32 s3, s2
	s_cbranch_execz .LBB101_41
; %bb.8:
	s_clause 0x2
	s_load_b64 s[2:3], s[0:1], 0x40
	s_load_b32 s6, s[0:1], 0x4
	s_load_b64 s[4:5], s[0:1], 0x10
	v_dual_mov_b32 v1, 0 :: v_dual_and_b32 v10, 7, v0
	v_mov_b32_e32 v2, 0
	s_waitcnt lgkmcnt(0)
	s_cmp_eq_u32 s6, 1
	s_cselect_b32 vcc_lo, -1, 0
	s_cmp_lg_u32 s6, 1
	s_cselect_b32 s11, -1, 0
	s_ashr_i32 s9, s8, 31
	s_delay_alu instid0(SALU_CYCLE_1) | instskip(NEXT) | instid1(SALU_CYCLE_1)
	s_lshl_b64 s[6:7], s[8:9], 2
	s_add_u32 s4, s4, s6
	s_addc_u32 s5, s5, s7
	s_load_b64 s[12:13], s[4:5], 0x0
	s_waitcnt lgkmcnt(0)
	s_cmp_ge_i32 s12, s13
	s_cbranch_scc1 .LBB101_16
; %bb.9:
	s_clause 0x1
	s_load_b128 s[4:7], s[0:1], 0x18
	s_load_b64 s[0:1], s[0:1], 0x30
	v_lshrrev_b32_e32 v1, 4, v0
	v_lshl_or_b32 v3, s12, 7, v0
	v_mov_b32_e32 v2, 0
	s_lshl_b32 s9, s10, 7
	s_delay_alu instid0(VALU_DEP_3) | instskip(NEXT) | instid1(VALU_DEP_3)
	v_dual_mov_b32 v4, 0 :: v_dual_cndmask_b32 v9, v10, v1
	v_subrev_nc_u32_e32 v3, s9, v3
	s_delay_alu instid0(VALU_DEP_3)
	v_mov_b32_e32 v1, v2
	s_sub_i32 s9, s13, s10
	s_sub_i32 s12, s12, s10
	s_set_inst_prefetch_distance 0x1
	s_branch .LBB101_11
	.p2align	6
.LBB101_10:                             ;   in Loop: Header=BB101_11 Depth=1
	s_or_b32 exec_lo, exec_lo, s13
	v_add_nc_u32_e32 v3, 0x80, v3
	s_add_i32 s12, s12, 1
	s_delay_alu instid0(SALU_CYCLE_1)
	s_cmp_ge_i32 s12, s9
	s_cbranch_scc1 .LBB101_16
.LBB101_11:                             ; =>This Inner Loop Header: Depth=1
	s_cmp_lt_i32 s12, s9
	s_cselect_b32 s14, -1, 0
	s_delay_alu instid0(SALU_CYCLE_1)
	s_and_saveexec_b32 s13, s14
	s_cbranch_execz .LBB101_10
; %bb.12:                               ;   in Loop: Header=BB101_11 Depth=1
	v_mov_b32_e32 v11, s12
	v_ashrrev_i32_e64 v12, 31, s12
	v_lshlrev_b64 v[13:14], 3, v[3:4]
	s_delay_alu instid0(VALU_DEP_2) | instskip(SKIP_1) | instid1(VALU_DEP_1)
	v_lshlrev_b64 v[11:12], 2, v[11:12]
	s_waitcnt lgkmcnt(0)
	v_add_co_u32 v11, vcc_lo, s4, v11
	s_delay_alu instid0(VALU_DEP_2) | instskip(NEXT) | instid1(VALU_DEP_4)
	v_add_co_ci_u32_e32 v12, vcc_lo, s5, v12, vcc_lo
	v_add_co_u32 v13, vcc_lo, s6, v13
	v_add_co_ci_u32_e32 v14, vcc_lo, s7, v14, vcc_lo
	global_load_b32 v11, v[11:12], off
	s_waitcnt vmcnt(0)
	v_subrev_nc_u32_e32 v11, s10, v11
	s_delay_alu instid0(VALU_DEP_1) | instskip(NEXT) | instid1(VALU_DEP_1)
	v_lshl_or_b32 v11, v11, 3, v9
	v_ashrrev_i32_e32 v12, 31, v11
	s_delay_alu instid0(VALU_DEP_1) | instskip(NEXT) | instid1(VALU_DEP_1)
	v_lshlrev_b64 v[11:12], 3, v[11:12]
	v_add_co_u32 v11, vcc_lo, s0, v11
	s_delay_alu instid0(VALU_DEP_2)
	v_add_co_ci_u32_e32 v12, vcc_lo, s1, v12, vcc_lo
	global_load_b64 v[13:14], v[13:14], off
	global_load_b64 v[11:12], v[11:12], off
	s_waitcnt vmcnt(0)
	v_fmac_f32_e32 v1, v13, v11
	v_fmac_f32_e32 v2, v14, v11
	s_delay_alu instid0(VALU_DEP_2) | instskip(NEXT) | instid1(VALU_DEP_2)
	v_fma_f32 v1, -v14, v12, v1
	v_fmac_f32_e32 v2, v13, v12
	s_branch .LBB101_10
.LBB101_13:
	v_dual_mov_b32 v1, s4 :: v_dual_mov_b32 v2, s5
	flat_load_b32 v7, v[1:2]
	v_cndmask_b32_e64 v1, 0, 1, s6
	v_mov_b32_e32 v8, s5
	s_and_not1_b32 vcc_lo, exec_lo, s6
	s_cbranch_vccnz .LBB101_2
.LBB101_14:
	v_dual_mov_b32 v2, s4 :: v_dual_mov_b32 v3, s5
	flat_load_b32 v8, v[2:3] offset:4
	v_cmp_ne_u32_e32 vcc_lo, 1, v1
	v_mov_b32_e32 v5, s2
	s_cbranch_vccnz .LBB101_3
.LBB101_15:
	v_dual_mov_b32 v2, s2 :: v_dual_mov_b32 v3, s3
	flat_load_b32 v5, v[2:3]
	v_cmp_ne_u32_e32 vcc_lo, 1, v1
	v_mov_b32_e32 v6, s3
	s_cbranch_vccz .LBB101_4
	s_branch .LBB101_5
.LBB101_16:
	s_set_inst_prefetch_distance 0x2
	v_lshlrev_b32_e32 v9, 3, v0
	s_and_b32 vcc_lo, exec_lo, s11
	ds_store_b64 v9, v[1:2]
	s_waitcnt lgkmcnt(0)
	s_barrier
	buffer_gl0_inv
	s_cbranch_vccz .LBB101_26
; %bb.17:
	s_mov_b32 s0, exec_lo
	v_cmpx_gt_u32_e32 4, v10
	s_cbranch_execz .LBB101_19
; %bb.18:
	ds_load_2addr_b64 v[11:14], v9 offset1:4
	s_waitcnt lgkmcnt(0)
	v_dual_add_f32 v3, v13, v11 :: v_dual_add_f32 v4, v14, v12
	ds_store_b64 v9, v[3:4]
.LBB101_19:
	s_or_b32 exec_lo, exec_lo, s0
	s_delay_alu instid0(SALU_CYCLE_1)
	s_mov_b32 s0, exec_lo
	s_waitcnt lgkmcnt(0)
	s_barrier
	buffer_gl0_inv
	v_cmpx_gt_u32_e32 2, v10
	s_cbranch_execz .LBB101_21
; %bb.20:
	ds_load_2addr_b64 v[11:14], v9 offset1:2
	s_waitcnt lgkmcnt(0)
	v_dual_add_f32 v3, v13, v11 :: v_dual_add_f32 v4, v14, v12
	ds_store_b64 v9, v[3:4]
.LBB101_21:
	s_or_b32 exec_lo, exec_lo, s0
	s_delay_alu instid0(SALU_CYCLE_1)
	s_mov_b32 s0, exec_lo
	s_waitcnt lgkmcnt(0)
	s_barrier
	buffer_gl0_inv
	v_cmpx_eq_u32_e32 0, v10
	s_cbranch_execz .LBB101_23
; %bb.22:
	ds_load_2addr_b64 v[10:13], v9 offset1:1
	s_waitcnt lgkmcnt(0)
	v_dual_add_f32 v3, v12, v10 :: v_dual_add_f32 v4, v13, v11
	ds_store_b64 v9, v[3:4]
.LBB101_23:
	s_or_b32 exec_lo, exec_lo, s0
	v_dual_mov_b32 v4, v2 :: v_dual_mov_b32 v3, v1
	s_mov_b32 s0, exec_lo
	s_waitcnt lgkmcnt(0)
	s_barrier
	buffer_gl0_inv
	v_cmpx_gt_u32_e32 16, v0
	s_cbranch_execz .LBB101_25
; %bb.24:
	v_mad_u32_u24 v3, v0, 56, v9
	ds_load_b64 v[3:4], v3
.LBB101_25:
	s_or_b32 exec_lo, exec_lo, s0
	s_branch .LBB101_36
.LBB101_26:
                                        ; implicit-def: $vgpr4
	s_cbranch_execz .LBB101_36
; %bb.27:
	s_mov_b32 s0, exec_lo
	v_cmpx_gt_u32_e32 64, v0
	s_cbranch_execz .LBB101_29
; %bb.28:
	ds_load_2addr_stride64_b64 v[10:13], v9 offset1:1
	s_waitcnt lgkmcnt(0)
	v_dual_add_f32 v3, v12, v10 :: v_dual_add_f32 v4, v13, v11
	ds_store_b64 v9, v[3:4]
.LBB101_29:
	s_or_b32 exec_lo, exec_lo, s0
	s_delay_alu instid0(SALU_CYCLE_1)
	s_mov_b32 s0, exec_lo
	s_waitcnt lgkmcnt(0)
	s_barrier
	buffer_gl0_inv
	v_cmpx_gt_u32_e32 32, v0
	s_cbranch_execz .LBB101_31
; %bb.30:
	ds_load_2addr_b64 v[10:13], v9 offset1:32
	s_waitcnt lgkmcnt(0)
	v_dual_add_f32 v3, v12, v10 :: v_dual_add_f32 v4, v13, v11
	ds_store_b64 v9, v[3:4]
.LBB101_31:
	s_or_b32 exec_lo, exec_lo, s0
	s_delay_alu instid0(SALU_CYCLE_1)
	s_mov_b32 s0, exec_lo
	s_waitcnt lgkmcnt(0)
	buffer_gl0_inv
	v_cmpx_lt_u32_e32 15, v0
	s_xor_b32 s0, exec_lo, s0
	s_cbranch_execz .LBB101_33
; %bb.32:
	buffer_gl0_inv
                                        ; implicit-def: $vgpr9
.LBB101_33:
	s_and_not1_saveexec_b32 s0, s0
	s_cbranch_execz .LBB101_35
; %bb.34:
	ds_load_2addr_b64 v[1:4], v9 offset1:16
	s_waitcnt lgkmcnt(0)
	v_dual_add_f32 v1, v3, v1 :: v_dual_add_f32 v2, v4, v2
	ds_store_b64 v9, v[1:2]
	s_waitcnt lgkmcnt(0)
	buffer_gl0_inv
	ds_load_b64 v[1:2], v9
.LBB101_35:
	s_or_b32 exec_lo, exec_lo, s0
	s_waitcnt lgkmcnt(0)
	v_dual_mov_b32 v4, v2 :: v_dual_mov_b32 v3, v1
.LBB101_36:
	v_cmp_gt_u32_e32 vcc_lo, 16, v0
	s_and_b32 exec_lo, exec_lo, vcc_lo
	s_cbranch_execz .LBB101_41
; %bb.37:
	s_waitcnt lgkmcnt(0)
	v_mul_f32_e64 v1, v4, -v8
	v_mul_f32_e32 v2, v4, v7
	v_cmp_eq_f32_e32 vcc_lo, 0, v5
	v_cmp_eq_f32_e64 s0, 0, v6
	s_delay_alu instid0(VALU_DEP_4) | instskip(NEXT) | instid1(VALU_DEP_4)
	v_fmac_f32_e32 v1, v7, v3
	v_fmac_f32_e32 v2, v8, v3
	v_lshl_or_b32 v3, s8, 4, v0
	s_delay_alu instid0(VALU_DEP_4) | instskip(NEXT) | instid1(SALU_CYCLE_1)
	s_and_b32 s0, vcc_lo, s0
	s_and_saveexec_b32 s1, s0
	s_delay_alu instid0(SALU_CYCLE_1)
	s_xor_b32 s0, exec_lo, s1
	s_cbranch_execz .LBB101_39
; %bb.38:
	v_mov_b32_e32 v4, 0
                                        ; implicit-def: $vgpr5
                                        ; implicit-def: $vgpr6
	s_delay_alu instid0(VALU_DEP_1) | instskip(NEXT) | instid1(VALU_DEP_1)
	v_lshlrev_b64 v[3:4], 3, v[3:4]
	v_add_co_u32 v3, vcc_lo, s2, v3
	s_delay_alu instid0(VALU_DEP_2)
	v_add_co_ci_u32_e32 v4, vcc_lo, s3, v4, vcc_lo
	global_store_b64 v[3:4], v[1:2], off
                                        ; implicit-def: $vgpr3
                                        ; implicit-def: $vgpr1
.LBB101_39:
	s_and_not1_saveexec_b32 s0, s0
	s_cbranch_execz .LBB101_41
; %bb.40:
	v_mov_b32_e32 v4, 0
	s_delay_alu instid0(VALU_DEP_1) | instskip(NEXT) | instid1(VALU_DEP_1)
	v_lshlrev_b64 v[3:4], 3, v[3:4]
	v_add_co_u32 v3, vcc_lo, s2, v3
	s_delay_alu instid0(VALU_DEP_2) | instskip(SKIP_4) | instid1(VALU_DEP_2)
	v_add_co_ci_u32_e32 v4, vcc_lo, s3, v4, vcc_lo
	global_load_b64 v[7:8], v[3:4], off
	s_waitcnt vmcnt(0)
	v_fmac_f32_e32 v1, v5, v7
	v_fmac_f32_e32 v2, v6, v7
	v_fma_f32 v1, -v6, v8, v1
	s_delay_alu instid0(VALU_DEP_2)
	v_fmac_f32_e32 v2, v5, v8
	global_store_b64 v[3:4], v[1:2], off
.LBB101_41:
	s_nop 0
	s_sendmsg sendmsg(MSG_DEALLOC_VGPRS)
	s_endpgm
	.section	.rodata,"a",@progbits
	.p2align	6, 0x0
	.amdhsa_kernel _ZN9rocsparseL22gebsrmvn_mxn_16_kernelILj128ELj16ELj8E21rocsparse_complex_numIfEEEvi20rocsparse_direction_NS_24const_host_device_scalarIT2_EEPKiS8_PKS5_iiSA_S6_PS5_21rocsparse_index_base_b
		.amdhsa_group_segment_fixed_size 1024
		.amdhsa_private_segment_fixed_size 0
		.amdhsa_kernarg_size 80
		.amdhsa_user_sgpr_count 15
		.amdhsa_user_sgpr_dispatch_ptr 0
		.amdhsa_user_sgpr_queue_ptr 0
		.amdhsa_user_sgpr_kernarg_segment_ptr 1
		.amdhsa_user_sgpr_dispatch_id 0
		.amdhsa_user_sgpr_private_segment_size 0
		.amdhsa_wavefront_size32 1
		.amdhsa_uses_dynamic_stack 0
		.amdhsa_enable_private_segment 0
		.amdhsa_system_sgpr_workgroup_id_x 1
		.amdhsa_system_sgpr_workgroup_id_y 0
		.amdhsa_system_sgpr_workgroup_id_z 0
		.amdhsa_system_sgpr_workgroup_info 0
		.amdhsa_system_vgpr_workitem_id 0
		.amdhsa_next_free_vgpr 15
		.amdhsa_next_free_sgpr 16
		.amdhsa_reserve_vcc 1
		.amdhsa_float_round_mode_32 0
		.amdhsa_float_round_mode_16_64 0
		.amdhsa_float_denorm_mode_32 3
		.amdhsa_float_denorm_mode_16_64 3
		.amdhsa_dx10_clamp 1
		.amdhsa_ieee_mode 1
		.amdhsa_fp16_overflow 0
		.amdhsa_workgroup_processor_mode 1
		.amdhsa_memory_ordered 1
		.amdhsa_forward_progress 0
		.amdhsa_shared_vgpr_count 0
		.amdhsa_exception_fp_ieee_invalid_op 0
		.amdhsa_exception_fp_denorm_src 0
		.amdhsa_exception_fp_ieee_div_zero 0
		.amdhsa_exception_fp_ieee_overflow 0
		.amdhsa_exception_fp_ieee_underflow 0
		.amdhsa_exception_fp_ieee_inexact 0
		.amdhsa_exception_int_div_zero 0
	.end_amdhsa_kernel
	.section	.text._ZN9rocsparseL22gebsrmvn_mxn_16_kernelILj128ELj16ELj8E21rocsparse_complex_numIfEEEvi20rocsparse_direction_NS_24const_host_device_scalarIT2_EEPKiS8_PKS5_iiSA_S6_PS5_21rocsparse_index_base_b,"axG",@progbits,_ZN9rocsparseL22gebsrmvn_mxn_16_kernelILj128ELj16ELj8E21rocsparse_complex_numIfEEEvi20rocsparse_direction_NS_24const_host_device_scalarIT2_EEPKiS8_PKS5_iiSA_S6_PS5_21rocsparse_index_base_b,comdat
.Lfunc_end101:
	.size	_ZN9rocsparseL22gebsrmvn_mxn_16_kernelILj128ELj16ELj8E21rocsparse_complex_numIfEEEvi20rocsparse_direction_NS_24const_host_device_scalarIT2_EEPKiS8_PKS5_iiSA_S6_PS5_21rocsparse_index_base_b, .Lfunc_end101-_ZN9rocsparseL22gebsrmvn_mxn_16_kernelILj128ELj16ELj8E21rocsparse_complex_numIfEEEvi20rocsparse_direction_NS_24const_host_device_scalarIT2_EEPKiS8_PKS5_iiSA_S6_PS5_21rocsparse_index_base_b
                                        ; -- End function
	.section	.AMDGPU.csdata,"",@progbits
; Kernel info:
; codeLenInByte = 1408
; NumSgprs: 18
; NumVgprs: 15
; ScratchSize: 0
; MemoryBound: 0
; FloatMode: 240
; IeeeMode: 1
; LDSByteSize: 1024 bytes/workgroup (compile time only)
; SGPRBlocks: 2
; VGPRBlocks: 1
; NumSGPRsForWavesPerEU: 18
; NumVGPRsForWavesPerEU: 15
; Occupancy: 16
; WaveLimiterHint : 1
; COMPUTE_PGM_RSRC2:SCRATCH_EN: 0
; COMPUTE_PGM_RSRC2:USER_SGPR: 15
; COMPUTE_PGM_RSRC2:TRAP_HANDLER: 0
; COMPUTE_PGM_RSRC2:TGID_X_EN: 1
; COMPUTE_PGM_RSRC2:TGID_Y_EN: 0
; COMPUTE_PGM_RSRC2:TGID_Z_EN: 0
; COMPUTE_PGM_RSRC2:TIDIG_COMP_CNT: 0
	.section	.text._ZN9rocsparseL22gebsrmvn_mxn_16_kernelILj52ELj13ELj1E21rocsparse_complex_numIdEEEvi20rocsparse_direction_NS_24const_host_device_scalarIT2_EEPKiS8_PKS5_iiSA_S6_PS5_21rocsparse_index_base_b,"axG",@progbits,_ZN9rocsparseL22gebsrmvn_mxn_16_kernelILj52ELj13ELj1E21rocsparse_complex_numIdEEEvi20rocsparse_direction_NS_24const_host_device_scalarIT2_EEPKiS8_PKS5_iiSA_S6_PS5_21rocsparse_index_base_b,comdat
	.globl	_ZN9rocsparseL22gebsrmvn_mxn_16_kernelILj52ELj13ELj1E21rocsparse_complex_numIdEEEvi20rocsparse_direction_NS_24const_host_device_scalarIT2_EEPKiS8_PKS5_iiSA_S6_PS5_21rocsparse_index_base_b ; -- Begin function _ZN9rocsparseL22gebsrmvn_mxn_16_kernelILj52ELj13ELj1E21rocsparse_complex_numIdEEEvi20rocsparse_direction_NS_24const_host_device_scalarIT2_EEPKiS8_PKS5_iiSA_S6_PS5_21rocsparse_index_base_b
	.p2align	8
	.type	_ZN9rocsparseL22gebsrmvn_mxn_16_kernelILj52ELj13ELj1E21rocsparse_complex_numIdEEEvi20rocsparse_direction_NS_24const_host_device_scalarIT2_EEPKiS8_PKS5_iiSA_S6_PS5_21rocsparse_index_base_b,@function
_ZN9rocsparseL22gebsrmvn_mxn_16_kernelILj52ELj13ELj1E21rocsparse_complex_numIdEEEvi20rocsparse_direction_NS_24const_host_device_scalarIT2_EEPKiS8_PKS5_iiSA_S6_PS5_21rocsparse_index_base_b: ; @_ZN9rocsparseL22gebsrmvn_mxn_16_kernelILj52ELj13ELj1E21rocsparse_complex_numIdEEEvi20rocsparse_direction_NS_24const_host_device_scalarIT2_EEPKiS8_PKS5_iiSA_S6_PS5_21rocsparse_index_base_b
; %bb.0:
	s_mov_b32 s12, s15
	s_load_b64 s[14:15], s[2:3], 0x58
	s_load_b64 s[16:17], s[0:1], 0x4
	s_load_b128 s[8:11], s[2:3], 0x8
	v_bfe_u32 v1, v0, 10, 10
	s_mov_b64 s[0:1], src_shared_base
	s_load_b128 s[4:7], s[2:3], 0x40
	v_and_b32_e32 v6, 0x3ff, v0
	v_bfe_u32 v0, v0, 20, 10
	s_waitcnt lgkmcnt(0)
	s_bitcmp1_b32 s15, 0
	v_mul_u32_u24_e32 v1, s17, v1
	s_cselect_b32 s0, -1, 0
	v_mov_b32_e32 v12, s11
	s_and_b32 vcc_lo, s0, exec_lo
	s_cselect_b32 s13, s1, s9
	s_lshr_b32 s15, s16, 16
	v_dual_mov_b32 v2, s4 :: v_dual_mov_b32 v11, s10
	s_mul_i32 s15, s15, s17
	s_xor_b32 s10, s0, -1
	v_mad_u32_u24 v1, s15, v6, v1
	v_mov_b32_e32 v5, s13
	v_mov_b32_e32 v3, s5
	s_delay_alu instid0(VALU_DEP_3) | instskip(SKIP_1) | instid1(VALU_DEP_2)
	v_add_lshl_u32 v7, v1, v0, 3
	v_dual_mov_b32 v0, s8 :: v_dual_mov_b32 v1, s9
	v_add_nc_u32_e32 v4, 0x4e0, v7
	ds_store_2addr_b64 v7, v[2:3], v[0:1] offset0:104 offset1:156
	v_add_nc_u32_e32 v0, 0x340, v7
	v_cndmask_b32_e64 v4, s8, v4, s0
	flat_load_b64 v[4:5], v[4:5]
	s_cbranch_vccnz .LBB102_2
; %bb.1:
	v_dual_mov_b32 v1, s8 :: v_dual_mov_b32 v2, s9
	flat_load_b64 v[11:12], v[1:2] offset:8
.LBB102_2:
	s_and_b32 s8, s0, exec_lo
	s_cselect_b32 s1, s1, s5
	v_cndmask_b32_e64 v0, s4, v0, s0
	v_dual_mov_b32 v1, s1 :: v_dual_mov_b32 v10, s7
	v_mov_b32_e32 v9, s6
	s_and_not1_b32 vcc_lo, exec_lo, s10
	flat_load_b64 v[7:8], v[0:1]
	s_cbranch_vccnz .LBB102_4
; %bb.3:
	v_dual_mov_b32 v0, s4 :: v_dual_mov_b32 v1, s5
	flat_load_b64 v[9:10], v[0:1] offset:8
.LBB102_4:
	s_waitcnt vmcnt(1) lgkmcnt(1)
	v_cmp_eq_f64_e32 vcc_lo, 0, v[4:5]
	v_cmp_eq_f64_e64 s0, 0, v[11:12]
	s_delay_alu instid0(VALU_DEP_1)
	s_and_b32 s4, vcc_lo, s0
	s_mov_b32 s0, -1
	s_and_saveexec_b32 s1, s4
	s_cbranch_execz .LBB102_6
; %bb.5:
	s_waitcnt vmcnt(0) lgkmcnt(0)
	v_cmp_neq_f64_e32 vcc_lo, 1.0, v[7:8]
	v_cmp_neq_f64_e64 s0, 0, v[9:10]
	s_delay_alu instid0(VALU_DEP_1) | instskip(NEXT) | instid1(SALU_CYCLE_1)
	s_or_b32 s0, vcc_lo, s0
	s_or_not1_b32 s0, s0, exec_lo
.LBB102_6:
	s_or_b32 exec_lo, exec_lo, s1
	s_and_saveexec_b32 s1, s0
	s_cbranch_execz .LBB102_23
; %bb.7:
	s_load_b64 s[0:1], s[2:3], 0x18
	s_ashr_i32 s13, s12, 31
	v_mov_b32_e32 v2, 0
	s_lshl_b64 s[4:5], s[12:13], 2
	v_mov_b32_e32 v3, 0
	s_delay_alu instid0(VALU_DEP_1)
	v_dual_mov_b32 v0, v2 :: v_dual_mov_b32 v1, v3
	s_waitcnt lgkmcnt(0)
	s_add_u32 s0, s0, s4
	s_addc_u32 s1, s1, s5
	s_load_b64 s[10:11], s[0:1], 0x0
	s_load_b64 s[8:9], s[2:3], 0x50
	s_waitcnt lgkmcnt(0)
	s_cmp_ge_i32 s10, s11
	s_cbranch_scc1 .LBB102_12
; %bb.8:
	s_clause 0x1
	s_load_b128 s[4:7], s[2:3], 0x20
	s_load_b64 s[0:1], s[2:3], 0x38
	s_waitcnt vmcnt(0)
	v_mad_u64_u32 v[0:1], null, s10, 13, v[6:7]
	v_mov_b32_e32 v2, 0
	v_mul_u32_u24_e32 v1, 0x13b2, v6
	v_dual_mov_b32 v3, 0 :: v_dual_mov_b32 v14, 0
	s_mul_i32 s2, s14, 13
	s_sub_i32 s3, s10, s14
	s_delay_alu instid0(VALU_DEP_2)
	v_lshrrev_b32_e32 v17, 16, v1
	v_subrev_nc_u32_e32 v13, s2, v0
	v_dual_mov_b32 v0, v2 :: v_dual_mov_b32 v1, v3
	s_sub_i32 s2, s11, s14
	s_set_inst_prefetch_distance 0x1
	s_branch .LBB102_10
	.p2align	6
.LBB102_9:                              ;   in Loop: Header=BB102_10 Depth=1
	s_or_b32 exec_lo, exec_lo, s10
	v_add_nc_u32_e32 v13, 52, v13
	s_add_i32 s3, s3, 4
	s_delay_alu instid0(SALU_CYCLE_1)
	s_cmp_ge_i32 s3, s2
	s_cbranch_scc1 .LBB102_12
.LBB102_10:                             ; =>This Inner Loop Header: Depth=1
	v_add_nc_u32_e32 v15, s3, v17
	s_mov_b32 s10, exec_lo
	s_delay_alu instid0(VALU_DEP_1)
	v_cmpx_gt_i32_e64 s2, v15
	s_cbranch_execz .LBB102_9
; %bb.11:                               ;   in Loop: Header=BB102_10 Depth=1
	v_ashrrev_i32_e32 v16, 31, v15
	v_lshlrev_b64 v[18:19], 4, v[13:14]
	s_delay_alu instid0(VALU_DEP_2) | instskip(SKIP_1) | instid1(VALU_DEP_1)
	v_lshlrev_b64 v[15:16], 2, v[15:16]
	s_waitcnt lgkmcnt(0)
	v_add_co_u32 v15, vcc_lo, s4, v15
	s_delay_alu instid0(VALU_DEP_2) | instskip(NEXT) | instid1(VALU_DEP_4)
	v_add_co_ci_u32_e32 v16, vcc_lo, s5, v16, vcc_lo
	v_add_co_u32 v18, vcc_lo, s6, v18
	v_add_co_ci_u32_e32 v19, vcc_lo, s7, v19, vcc_lo
	global_load_b32 v15, v[15:16], off
	s_waitcnt vmcnt(0)
	v_subrev_nc_u32_e32 v15, s14, v15
	s_delay_alu instid0(VALU_DEP_1) | instskip(NEXT) | instid1(VALU_DEP_1)
	v_ashrrev_i32_e32 v16, 31, v15
	v_lshlrev_b64 v[15:16], 4, v[15:16]
	s_delay_alu instid0(VALU_DEP_1) | instskip(NEXT) | instid1(VALU_DEP_2)
	v_add_co_u32 v15, vcc_lo, s0, v15
	v_add_co_ci_u32_e32 v16, vcc_lo, s1, v16, vcc_lo
	global_load_b128 v[18:21], v[18:19], off
	global_load_b128 v[22:25], v[15:16], off
	s_waitcnt vmcnt(0)
	v_fma_f64 v[0:1], v[18:19], v[22:23], v[0:1]
	v_fma_f64 v[2:3], v[20:21], v[22:23], v[2:3]
	s_delay_alu instid0(VALU_DEP_2) | instskip(NEXT) | instid1(VALU_DEP_2)
	v_fma_f64 v[0:1], -v[20:21], v[24:25], v[0:1]
	v_fma_f64 v[2:3], v[18:19], v[24:25], v[2:3]
	s_branch .LBB102_9
.LBB102_12:
	s_set_inst_prefetch_distance 0x2
	v_lshlrev_b32_e32 v13, 4, v6
	s_waitcnt lgkmcnt(0)
	s_mov_b32 s0, exec_lo
	ds_store_b128 v13, v[0:3]
	s_waitcnt vmcnt(0) lgkmcnt(0)
	s_barrier
	buffer_gl0_inv
	v_cmpx_gt_u32_e32 26, v6
	s_cbranch_execz .LBB102_14
; %bb.13:
	ds_load_b128 v[14:17], v13 offset:416
	ds_load_b128 v[18:21], v13
	s_waitcnt lgkmcnt(0)
	v_add_f64 v[14:15], v[14:15], v[18:19]
	v_add_f64 v[16:17], v[16:17], v[20:21]
	ds_store_b128 v13, v[14:17]
.LBB102_14:
	s_or_b32 exec_lo, exec_lo, s0
	v_cmp_gt_u32_e32 vcc_lo, 13, v6
	s_waitcnt lgkmcnt(0)
	s_barrier
	buffer_gl0_inv
	s_and_saveexec_b32 s0, vcc_lo
	s_cbranch_execz .LBB102_16
; %bb.15:
	ds_load_b128 v[14:17], v13 offset:208
	ds_load_b128 v[18:21], v13
	s_waitcnt lgkmcnt(0)
	v_add_f64 v[14:15], v[14:15], v[18:19]
	v_add_f64 v[16:17], v[16:17], v[20:21]
	ds_store_b128 v13, v[14:17]
.LBB102_16:
	s_or_b32 exec_lo, exec_lo, s0
	s_waitcnt lgkmcnt(0)
	s_barrier
	buffer_gl0_inv
	s_and_saveexec_b32 s0, vcc_lo
	s_cbranch_execz .LBB102_18
; %bb.17:
	ds_load_b128 v[0:3], v13
.LBB102_18:
	s_or_b32 exec_lo, exec_lo, s0
	s_delay_alu instid0(SALU_CYCLE_1)
	s_and_b32 exec_lo, exec_lo, vcc_lo
	s_cbranch_execz .LBB102_23
; %bb.19:
	s_waitcnt lgkmcnt(0)
	v_mul_f64 v[13:14], v[2:3], -v[11:12]
	v_mul_f64 v[15:16], v[4:5], v[2:3]
	v_cmp_eq_f64_e32 vcc_lo, 0, v[7:8]
	v_cmp_eq_f64_e64 s0, 0, v[9:10]
	s_delay_alu instid0(VALU_DEP_4) | instskip(NEXT) | instid1(VALU_DEP_4)
	v_fma_f64 v[2:3], v[4:5], v[0:1], v[13:14]
	v_fma_f64 v[4:5], v[11:12], v[0:1], v[15:16]
	s_delay_alu instid0(VALU_DEP_3) | instskip(NEXT) | instid1(SALU_CYCLE_1)
	s_and_b32 s0, vcc_lo, s0
	s_and_saveexec_b32 s1, s0
	s_delay_alu instid0(SALU_CYCLE_1)
	s_xor_b32 s0, exec_lo, s1
	s_cbranch_execz .LBB102_21
; %bb.20:
	v_mad_u64_u32 v[0:1], null, s12, 13, v[6:7]
	v_mov_b32_e32 v1, 0
                                        ; implicit-def: $vgpr6
                                        ; implicit-def: $vgpr7_vgpr8
                                        ; implicit-def: $vgpr9_vgpr10
	s_delay_alu instid0(VALU_DEP_1) | instskip(NEXT) | instid1(VALU_DEP_1)
	v_lshlrev_b64 v[0:1], 4, v[0:1]
	v_add_co_u32 v0, vcc_lo, s8, v0
	s_delay_alu instid0(VALU_DEP_2)
	v_add_co_ci_u32_e32 v1, vcc_lo, s9, v1, vcc_lo
	global_store_b128 v[0:1], v[2:5], off
                                        ; implicit-def: $vgpr2_vgpr3
.LBB102_21:
	s_and_not1_saveexec_b32 s0, s0
	s_cbranch_execz .LBB102_23
; %bb.22:
	v_mad_u64_u32 v[0:1], null, s12, 13, v[6:7]
	v_mov_b32_e32 v1, 0
	s_delay_alu instid0(VALU_DEP_1) | instskip(NEXT) | instid1(VALU_DEP_1)
	v_lshlrev_b64 v[0:1], 4, v[0:1]
	v_add_co_u32 v15, vcc_lo, s8, v0
	s_delay_alu instid0(VALU_DEP_2) | instskip(SKIP_4) | instid1(VALU_DEP_2)
	v_add_co_ci_u32_e32 v16, vcc_lo, s9, v1, vcc_lo
	global_load_b128 v[11:14], v[15:16], off
	s_waitcnt vmcnt(0)
	v_fma_f64 v[0:1], v[7:8], v[11:12], v[2:3]
	v_fma_f64 v[2:3], v[9:10], v[11:12], v[4:5]
	v_fma_f64 v[0:1], -v[9:10], v[13:14], v[0:1]
	s_delay_alu instid0(VALU_DEP_2)
	v_fma_f64 v[2:3], v[7:8], v[13:14], v[2:3]
	global_store_b128 v[15:16], v[0:3], off
.LBB102_23:
	s_nop 0
	s_sendmsg sendmsg(MSG_DEALLOC_VGPRS)
	s_endpgm
	.section	.rodata,"a",@progbits
	.p2align	6, 0x0
	.amdhsa_kernel _ZN9rocsparseL22gebsrmvn_mxn_16_kernelILj52ELj13ELj1E21rocsparse_complex_numIdEEEvi20rocsparse_direction_NS_24const_host_device_scalarIT2_EEPKiS8_PKS5_iiSA_S6_PS5_21rocsparse_index_base_b
		.amdhsa_group_segment_fixed_size 1664
		.amdhsa_private_segment_fixed_size 0
		.amdhsa_kernarg_size 96
		.amdhsa_user_sgpr_count 15
		.amdhsa_user_sgpr_dispatch_ptr 1
		.amdhsa_user_sgpr_queue_ptr 0
		.amdhsa_user_sgpr_kernarg_segment_ptr 1
		.amdhsa_user_sgpr_dispatch_id 0
		.amdhsa_user_sgpr_private_segment_size 0
		.amdhsa_wavefront_size32 1
		.amdhsa_uses_dynamic_stack 0
		.amdhsa_enable_private_segment 0
		.amdhsa_system_sgpr_workgroup_id_x 1
		.amdhsa_system_sgpr_workgroup_id_y 0
		.amdhsa_system_sgpr_workgroup_id_z 0
		.amdhsa_system_sgpr_workgroup_info 0
		.amdhsa_system_vgpr_workitem_id 2
		.amdhsa_next_free_vgpr 26
		.amdhsa_next_free_sgpr 18
		.amdhsa_reserve_vcc 1
		.amdhsa_float_round_mode_32 0
		.amdhsa_float_round_mode_16_64 0
		.amdhsa_float_denorm_mode_32 3
		.amdhsa_float_denorm_mode_16_64 3
		.amdhsa_dx10_clamp 1
		.amdhsa_ieee_mode 1
		.amdhsa_fp16_overflow 0
		.amdhsa_workgroup_processor_mode 1
		.amdhsa_memory_ordered 1
		.amdhsa_forward_progress 0
		.amdhsa_shared_vgpr_count 0
		.amdhsa_exception_fp_ieee_invalid_op 0
		.amdhsa_exception_fp_denorm_src 0
		.amdhsa_exception_fp_ieee_div_zero 0
		.amdhsa_exception_fp_ieee_overflow 0
		.amdhsa_exception_fp_ieee_underflow 0
		.amdhsa_exception_fp_ieee_inexact 0
		.amdhsa_exception_int_div_zero 0
	.end_amdhsa_kernel
	.section	.text._ZN9rocsparseL22gebsrmvn_mxn_16_kernelILj52ELj13ELj1E21rocsparse_complex_numIdEEEvi20rocsparse_direction_NS_24const_host_device_scalarIT2_EEPKiS8_PKS5_iiSA_S6_PS5_21rocsparse_index_base_b,"axG",@progbits,_ZN9rocsparseL22gebsrmvn_mxn_16_kernelILj52ELj13ELj1E21rocsparse_complex_numIdEEEvi20rocsparse_direction_NS_24const_host_device_scalarIT2_EEPKiS8_PKS5_iiSA_S6_PS5_21rocsparse_index_base_b,comdat
.Lfunc_end102:
	.size	_ZN9rocsparseL22gebsrmvn_mxn_16_kernelILj52ELj13ELj1E21rocsparse_complex_numIdEEEvi20rocsparse_direction_NS_24const_host_device_scalarIT2_EEPKiS8_PKS5_iiSA_S6_PS5_21rocsparse_index_base_b, .Lfunc_end102-_ZN9rocsparseL22gebsrmvn_mxn_16_kernelILj52ELj13ELj1E21rocsparse_complex_numIdEEEvi20rocsparse_direction_NS_24const_host_device_scalarIT2_EEPKiS8_PKS5_iiSA_S6_PS5_21rocsparse_index_base_b
                                        ; -- End function
	.section	.AMDGPU.csdata,"",@progbits
; Kernel info:
; codeLenInByte = 1184
; NumSgprs: 20
; NumVgprs: 26
; ScratchSize: 0
; MemoryBound: 0
; FloatMode: 240
; IeeeMode: 1
; LDSByteSize: 1664 bytes/workgroup (compile time only)
; SGPRBlocks: 2
; VGPRBlocks: 3
; NumSGPRsForWavesPerEU: 20
; NumVGPRsForWavesPerEU: 26
; Occupancy: 16
; WaveLimiterHint : 1
; COMPUTE_PGM_RSRC2:SCRATCH_EN: 0
; COMPUTE_PGM_RSRC2:USER_SGPR: 15
; COMPUTE_PGM_RSRC2:TRAP_HANDLER: 0
; COMPUTE_PGM_RSRC2:TGID_X_EN: 1
; COMPUTE_PGM_RSRC2:TGID_Y_EN: 0
; COMPUTE_PGM_RSRC2:TGID_Z_EN: 0
; COMPUTE_PGM_RSRC2:TIDIG_COMP_CNT: 2
	.section	.text._ZN9rocsparseL22gebsrmvn_mxn_16_kernelILj52ELj13ELj2E21rocsparse_complex_numIdEEEvi20rocsparse_direction_NS_24const_host_device_scalarIT2_EEPKiS8_PKS5_iiSA_S6_PS5_21rocsparse_index_base_b,"axG",@progbits,_ZN9rocsparseL22gebsrmvn_mxn_16_kernelILj52ELj13ELj2E21rocsparse_complex_numIdEEEvi20rocsparse_direction_NS_24const_host_device_scalarIT2_EEPKiS8_PKS5_iiSA_S6_PS5_21rocsparse_index_base_b,comdat
	.globl	_ZN9rocsparseL22gebsrmvn_mxn_16_kernelILj52ELj13ELj2E21rocsparse_complex_numIdEEEvi20rocsparse_direction_NS_24const_host_device_scalarIT2_EEPKiS8_PKS5_iiSA_S6_PS5_21rocsparse_index_base_b ; -- Begin function _ZN9rocsparseL22gebsrmvn_mxn_16_kernelILj52ELj13ELj2E21rocsparse_complex_numIdEEEvi20rocsparse_direction_NS_24const_host_device_scalarIT2_EEPKiS8_PKS5_iiSA_S6_PS5_21rocsparse_index_base_b
	.p2align	8
	.type	_ZN9rocsparseL22gebsrmvn_mxn_16_kernelILj52ELj13ELj2E21rocsparse_complex_numIdEEEvi20rocsparse_direction_NS_24const_host_device_scalarIT2_EEPKiS8_PKS5_iiSA_S6_PS5_21rocsparse_index_base_b,@function
_ZN9rocsparseL22gebsrmvn_mxn_16_kernelILj52ELj13ELj2E21rocsparse_complex_numIdEEEvi20rocsparse_direction_NS_24const_host_device_scalarIT2_EEPKiS8_PKS5_iiSA_S6_PS5_21rocsparse_index_base_b: ; @_ZN9rocsparseL22gebsrmvn_mxn_16_kernelILj52ELj13ELj2E21rocsparse_complex_numIdEEEvi20rocsparse_direction_NS_24const_host_device_scalarIT2_EEPKiS8_PKS5_iiSA_S6_PS5_21rocsparse_index_base_b
; %bb.0:
	s_mov_b32 s12, s15
	s_load_b64 s[14:15], s[2:3], 0x58
	s_load_b64 s[16:17], s[0:1], 0x4
	s_load_b128 s[8:11], s[2:3], 0x8
	v_bfe_u32 v1, v0, 10, 10
	s_mov_b64 s[0:1], src_shared_base
	s_load_b128 s[4:7], s[2:3], 0x40
	v_and_b32_e32 v8, 0x3ff, v0
	v_bfe_u32 v0, v0, 20, 10
	s_waitcnt lgkmcnt(0)
	s_bitcmp1_b32 s15, 0
	v_mul_u32_u24_e32 v1, s17, v1
	s_cselect_b32 s0, -1, 0
	v_mov_b32_e32 v16, s11
	s_and_b32 vcc_lo, s0, exec_lo
	s_cselect_b32 s13, s1, s9
	s_lshr_b32 s15, s16, 16
	v_dual_mov_b32 v2, s4 :: v_dual_mov_b32 v15, s10
	s_mul_i32 s15, s15, s17
	s_xor_b32 s10, s0, -1
	v_mad_u32_u24 v1, s15, v8, v1
	v_mov_b32_e32 v5, s13
	v_mov_b32_e32 v3, s5
	s_delay_alu instid0(VALU_DEP_3) | instskip(SKIP_1) | instid1(VALU_DEP_2)
	v_add_lshl_u32 v6, v1, v0, 3
	v_dual_mov_b32 v0, s8 :: v_dual_mov_b32 v1, s9
	v_add_nc_u32_e32 v4, 0x4e0, v6
	ds_store_2addr_b64 v6, v[2:3], v[0:1] offset0:104 offset1:156
	v_add_nc_u32_e32 v0, 0x340, v6
	v_cndmask_b32_e64 v4, s8, v4, s0
	flat_load_b64 v[13:14], v[4:5]
	s_cbranch_vccnz .LBB103_2
; %bb.1:
	v_dual_mov_b32 v1, s8 :: v_dual_mov_b32 v2, s9
	flat_load_b64 v[15:16], v[1:2] offset:8
.LBB103_2:
	s_and_b32 s8, s0, exec_lo
	s_cselect_b32 s1, s1, s5
	v_cndmask_b32_e64 v0, s4, v0, s0
	v_dual_mov_b32 v1, s1 :: v_dual_mov_b32 v12, s7
	v_mov_b32_e32 v11, s6
	s_and_not1_b32 vcc_lo, exec_lo, s10
	flat_load_b64 v[9:10], v[0:1]
	s_cbranch_vccnz .LBB103_4
; %bb.3:
	v_dual_mov_b32 v0, s4 :: v_dual_mov_b32 v1, s5
	flat_load_b64 v[11:12], v[0:1] offset:8
.LBB103_4:
	s_waitcnt vmcnt(1) lgkmcnt(1)
	v_cmp_eq_f64_e32 vcc_lo, 0, v[13:14]
	v_cmp_eq_f64_e64 s0, 0, v[15:16]
	s_delay_alu instid0(VALU_DEP_1)
	s_and_b32 s4, vcc_lo, s0
	s_mov_b32 s0, -1
	s_and_saveexec_b32 s1, s4
	s_cbranch_execz .LBB103_6
; %bb.5:
	s_waitcnt vmcnt(0) lgkmcnt(0)
	v_cmp_neq_f64_e32 vcc_lo, 1.0, v[9:10]
	v_cmp_neq_f64_e64 s0, 0, v[11:12]
	s_delay_alu instid0(VALU_DEP_1) | instskip(NEXT) | instid1(SALU_CYCLE_1)
	s_or_b32 s0, vcc_lo, s0
	s_or_not1_b32 s0, s0, exec_lo
.LBB103_6:
	s_or_b32 exec_lo, exec_lo, s1
	s_and_saveexec_b32 s1, s0
	s_cbranch_execz .LBB103_33
; %bb.7:
	s_clause 0x1
	s_load_b32 s4, s[2:3], 0x4
	s_load_b64 s[0:1], s[2:3], 0x18
	v_and_b32_e32 v17, 1, v8
	s_delay_alu instid0(VALU_DEP_1) | instskip(SKIP_3) | instid1(SALU_CYCLE_1)
	v_mov_b32_e32 v18, v17
	s_waitcnt lgkmcnt(0)
	s_cmp_lg_u32 s4, 1
	s_cselect_b32 s15, -1, 0
	s_and_b32 vcc_lo, exec_lo, s15
	s_cbranch_vccnz .LBB103_9
; %bb.8:
	v_mul_u32_u24_e32 v0, 0x13b2, v8
	s_delay_alu instid0(VALU_DEP_1)
	v_bfe_u32 v18, v0, 16, 1
.LBB103_9:
	s_ashr_i32 s13, s12, 31
	v_mov_b32_e32 v2, 0
	s_lshl_b64 s[4:5], s[12:13], 2
	v_mov_b32_e32 v3, 0
	s_add_u32 s0, s0, s4
	s_addc_u32 s1, s1, s5
	v_mov_b32_e32 v0, v2
	s_load_b64 s[10:11], s[0:1], 0x0
	s_load_b64 s[8:9], s[2:3], 0x50
	v_mov_b32_e32 v1, v3
	s_waitcnt lgkmcnt(0)
	s_cmp_ge_i32 s10, s11
	s_cbranch_scc1 .LBB103_14
; %bb.10:
	s_clause 0x1
	s_load_b128 s[4:7], s[2:3], 0x20
	s_load_b64 s[0:1], s[2:3], 0x38
	s_waitcnt vmcnt(0)
	v_mad_u64_u32 v[0:1], null, s10, 26, v[8:9]
	v_dual_mov_b32 v2, 0 :: v_dual_mov_b32 v5, 0
	v_mul_u32_u24_e32 v1, 0x9d9, v8
	v_mov_b32_e32 v3, 0
	s_mul_i32 s2, s14, 26
	s_sub_i32 s3, s10, s14
	s_delay_alu instid0(VALU_DEP_4)
	v_subrev_nc_u32_e32 v4, s2, v0
	v_lshrrev_b32_e32 v19, 16, v1
	v_dual_mov_b32 v0, v2 :: v_dual_mov_b32 v1, v3
	s_sub_i32 s2, s11, s14
	s_set_inst_prefetch_distance 0x1
	s_branch .LBB103_12
	.p2align	6
.LBB103_11:                             ;   in Loop: Header=BB103_12 Depth=1
	s_or_b32 exec_lo, exec_lo, s10
	v_add_nc_u32_e32 v4, 52, v4
	s_add_i32 s3, s3, 2
	s_delay_alu instid0(SALU_CYCLE_1)
	s_cmp_ge_i32 s3, s2
	s_cbranch_scc1 .LBB103_14
.LBB103_12:                             ; =>This Inner Loop Header: Depth=1
	v_add_nc_u32_e32 v6, s3, v19
	s_mov_b32 s10, exec_lo
	s_delay_alu instid0(VALU_DEP_1)
	v_cmpx_gt_i32_e64 s2, v6
	s_cbranch_execz .LBB103_11
; %bb.13:                               ;   in Loop: Header=BB103_12 Depth=1
	v_ashrrev_i32_e32 v7, 31, v6
	v_lshlrev_b64 v[20:21], 4, v[4:5]
	s_delay_alu instid0(VALU_DEP_2) | instskip(SKIP_1) | instid1(VALU_DEP_1)
	v_lshlrev_b64 v[6:7], 2, v[6:7]
	s_waitcnt lgkmcnt(0)
	v_add_co_u32 v6, vcc_lo, s4, v6
	s_delay_alu instid0(VALU_DEP_2) | instskip(NEXT) | instid1(VALU_DEP_4)
	v_add_co_ci_u32_e32 v7, vcc_lo, s5, v7, vcc_lo
	v_add_co_u32 v20, vcc_lo, s6, v20
	v_add_co_ci_u32_e32 v21, vcc_lo, s7, v21, vcc_lo
	global_load_b32 v6, v[6:7], off
	s_waitcnt vmcnt(0)
	v_subrev_nc_u32_e32 v6, s14, v6
	s_delay_alu instid0(VALU_DEP_1) | instskip(NEXT) | instid1(VALU_DEP_1)
	v_lshl_or_b32 v6, v6, 1, v18
	v_ashrrev_i32_e32 v7, 31, v6
	s_delay_alu instid0(VALU_DEP_1) | instskip(NEXT) | instid1(VALU_DEP_1)
	v_lshlrev_b64 v[6:7], 4, v[6:7]
	v_add_co_u32 v6, vcc_lo, s0, v6
	s_delay_alu instid0(VALU_DEP_2)
	v_add_co_ci_u32_e32 v7, vcc_lo, s1, v7, vcc_lo
	global_load_b128 v[20:23], v[20:21], off
	global_load_b128 v[24:27], v[6:7], off
	s_waitcnt vmcnt(0)
	v_fma_f64 v[0:1], v[20:21], v[24:25], v[0:1]
	v_fma_f64 v[2:3], v[22:23], v[24:25], v[2:3]
	s_delay_alu instid0(VALU_DEP_2) | instskip(NEXT) | instid1(VALU_DEP_2)
	v_fma_f64 v[0:1], -v[22:23], v[26:27], v[0:1]
	v_fma_f64 v[2:3], v[20:21], v[26:27], v[2:3]
	s_branch .LBB103_11
.LBB103_14:
	s_set_inst_prefetch_distance 0x2
	v_lshlrev_b32_e32 v18, 4, v8
	s_waitcnt lgkmcnt(0)
	s_mov_b32 s0, exec_lo
	ds_store_b128 v18, v[0:3]
	s_waitcnt vmcnt(0) lgkmcnt(0)
	s_barrier
	buffer_gl0_inv
	v_cmpx_gt_u32_e32 26, v8
	s_cbranch_execz .LBB103_16
; %bb.15:
	ds_load_b128 v[4:7], v18 offset:416
	ds_load_b128 v[19:22], v18
	s_waitcnt lgkmcnt(0)
	v_add_f64 v[4:5], v[4:5], v[19:20]
	v_add_f64 v[6:7], v[6:7], v[21:22]
	ds_store_b128 v18, v[4:7]
.LBB103_16:
	s_or_b32 exec_lo, exec_lo, s0
	s_delay_alu instid0(SALU_CYCLE_1)
	s_and_b32 vcc_lo, exec_lo, s15
	s_waitcnt lgkmcnt(0)
	s_barrier
	buffer_gl0_inv
	s_cbranch_vccz .LBB103_22
; %bb.17:
	s_mov_b32 s0, exec_lo
	v_cmpx_eq_u32_e32 0, v17
	s_cbranch_execz .LBB103_19
; %bb.18:
	ds_load_b128 v[4:7], v18
	ds_load_b128 v[19:22], v18 offset:16
	s_waitcnt lgkmcnt(0)
	v_add_f64 v[4:5], v[19:20], v[4:5]
	v_add_f64 v[6:7], v[21:22], v[6:7]
	ds_store_b128 v18, v[4:7]
.LBB103_19:
	s_or_b32 exec_lo, exec_lo, s0
	v_dual_mov_b32 v7, v3 :: v_dual_mov_b32 v6, v2
	v_dual_mov_b32 v5, v1 :: v_dual_mov_b32 v4, v0
	s_mov_b32 s0, exec_lo
	s_waitcnt lgkmcnt(0)
	s_barrier
	buffer_gl0_inv
	v_cmpx_gt_u32_e32 13, v8
	s_cbranch_execz .LBB103_21
; %bb.20:
	v_lshl_add_u32 v4, v8, 4, v18
	ds_load_b128 v[4:7], v4
.LBB103_21:
	s_or_b32 exec_lo, exec_lo, s0
	s_branch .LBB103_28
.LBB103_22:
                                        ; implicit-def: $vgpr6_vgpr7
	s_cbranch_execz .LBB103_28
; %bb.23:
	s_mov_b32 s0, exec_lo
	v_cmpx_lt_u32_e32 12, v8
	s_xor_b32 s0, exec_lo, s0
	s_cbranch_execz .LBB103_25
; %bb.24:
	s_waitcnt lgkmcnt(0)
	buffer_gl0_inv
                                        ; implicit-def: $vgpr18
.LBB103_25:
	s_and_not1_saveexec_b32 s0, s0
	s_cbranch_execz .LBB103_27
; %bb.26:
	ds_load_b128 v[0:3], v18 offset:208
	s_waitcnt lgkmcnt(1)
	ds_load_b128 v[4:7], v18
	s_waitcnt lgkmcnt(0)
	v_add_f64 v[0:1], v[0:1], v[4:5]
	v_add_f64 v[2:3], v[2:3], v[6:7]
	ds_store_b128 v18, v[0:3]
	s_waitcnt lgkmcnt(0)
	buffer_gl0_inv
	ds_load_b128 v[0:3], v18
.LBB103_27:
	s_or_b32 exec_lo, exec_lo, s0
	s_waitcnt lgkmcnt(0)
	v_dual_mov_b32 v5, v1 :: v_dual_mov_b32 v4, v0
	v_dual_mov_b32 v7, v3 :: v_dual_mov_b32 v6, v2
.LBB103_28:
	v_cmp_gt_u32_e32 vcc_lo, 13, v8
	s_and_b32 exec_lo, exec_lo, vcc_lo
	s_cbranch_execz .LBB103_33
; %bb.29:
	s_waitcnt lgkmcnt(0)
	v_mul_f64 v[0:1], v[6:7], -v[15:16]
	v_mul_f64 v[2:3], v[13:14], v[6:7]
	v_cmp_eq_f64_e32 vcc_lo, 0, v[9:10]
	v_cmp_eq_f64_e64 s0, 0, v[11:12]
	s_delay_alu instid0(VALU_DEP_4) | instskip(NEXT) | instid1(VALU_DEP_4)
	v_fma_f64 v[0:1], v[13:14], v[4:5], v[0:1]
	v_fma_f64 v[2:3], v[15:16], v[4:5], v[2:3]
	s_delay_alu instid0(VALU_DEP_3) | instskip(NEXT) | instid1(SALU_CYCLE_1)
	s_and_b32 s0, vcc_lo, s0
	s_and_saveexec_b32 s1, s0
	s_delay_alu instid0(SALU_CYCLE_1)
	s_xor_b32 s0, exec_lo, s1
	s_cbranch_execz .LBB103_31
; %bb.30:
	v_mad_u64_u32 v[4:5], null, s12, 13, v[8:9]
	v_mov_b32_e32 v5, 0
                                        ; implicit-def: $vgpr8
                                        ; implicit-def: $vgpr9_vgpr10
                                        ; implicit-def: $vgpr11_vgpr12
	s_delay_alu instid0(VALU_DEP_1) | instskip(NEXT) | instid1(VALU_DEP_1)
	v_lshlrev_b64 v[4:5], 4, v[4:5]
	v_add_co_u32 v4, vcc_lo, s8, v4
	s_delay_alu instid0(VALU_DEP_2)
	v_add_co_ci_u32_e32 v5, vcc_lo, s9, v5, vcc_lo
	global_store_b128 v[4:5], v[0:3], off
                                        ; implicit-def: $vgpr0_vgpr1
.LBB103_31:
	s_and_not1_saveexec_b32 s0, s0
	s_cbranch_execz .LBB103_33
; %bb.32:
	v_mad_u64_u32 v[4:5], null, s12, 13, v[8:9]
	v_mov_b32_e32 v5, 0
	s_delay_alu instid0(VALU_DEP_1) | instskip(NEXT) | instid1(VALU_DEP_1)
	v_lshlrev_b64 v[4:5], 4, v[4:5]
	v_add_co_u32 v13, vcc_lo, s8, v4
	s_delay_alu instid0(VALU_DEP_2) | instskip(SKIP_4) | instid1(VALU_DEP_2)
	v_add_co_ci_u32_e32 v14, vcc_lo, s9, v5, vcc_lo
	global_load_b128 v[4:7], v[13:14], off
	s_waitcnt vmcnt(0)
	v_fma_f64 v[0:1], v[9:10], v[4:5], v[0:1]
	v_fma_f64 v[2:3], v[11:12], v[4:5], v[2:3]
	v_fma_f64 v[0:1], -v[11:12], v[6:7], v[0:1]
	s_delay_alu instid0(VALU_DEP_2)
	v_fma_f64 v[2:3], v[9:10], v[6:7], v[2:3]
	global_store_b128 v[13:14], v[0:3], off
.LBB103_33:
	s_nop 0
	s_sendmsg sendmsg(MSG_DEALLOC_VGPRS)
	s_endpgm
	.section	.rodata,"a",@progbits
	.p2align	6, 0x0
	.amdhsa_kernel _ZN9rocsparseL22gebsrmvn_mxn_16_kernelILj52ELj13ELj2E21rocsparse_complex_numIdEEEvi20rocsparse_direction_NS_24const_host_device_scalarIT2_EEPKiS8_PKS5_iiSA_S6_PS5_21rocsparse_index_base_b
		.amdhsa_group_segment_fixed_size 1664
		.amdhsa_private_segment_fixed_size 0
		.amdhsa_kernarg_size 96
		.amdhsa_user_sgpr_count 15
		.amdhsa_user_sgpr_dispatch_ptr 1
		.amdhsa_user_sgpr_queue_ptr 0
		.amdhsa_user_sgpr_kernarg_segment_ptr 1
		.amdhsa_user_sgpr_dispatch_id 0
		.amdhsa_user_sgpr_private_segment_size 0
		.amdhsa_wavefront_size32 1
		.amdhsa_uses_dynamic_stack 0
		.amdhsa_enable_private_segment 0
		.amdhsa_system_sgpr_workgroup_id_x 1
		.amdhsa_system_sgpr_workgroup_id_y 0
		.amdhsa_system_sgpr_workgroup_id_z 0
		.amdhsa_system_sgpr_workgroup_info 0
		.amdhsa_system_vgpr_workitem_id 2
		.amdhsa_next_free_vgpr 28
		.amdhsa_next_free_sgpr 18
		.amdhsa_reserve_vcc 1
		.amdhsa_float_round_mode_32 0
		.amdhsa_float_round_mode_16_64 0
		.amdhsa_float_denorm_mode_32 3
		.amdhsa_float_denorm_mode_16_64 3
		.amdhsa_dx10_clamp 1
		.amdhsa_ieee_mode 1
		.amdhsa_fp16_overflow 0
		.amdhsa_workgroup_processor_mode 1
		.amdhsa_memory_ordered 1
		.amdhsa_forward_progress 0
		.amdhsa_shared_vgpr_count 0
		.amdhsa_exception_fp_ieee_invalid_op 0
		.amdhsa_exception_fp_denorm_src 0
		.amdhsa_exception_fp_ieee_div_zero 0
		.amdhsa_exception_fp_ieee_overflow 0
		.amdhsa_exception_fp_ieee_underflow 0
		.amdhsa_exception_fp_ieee_inexact 0
		.amdhsa_exception_int_div_zero 0
	.end_amdhsa_kernel
	.section	.text._ZN9rocsparseL22gebsrmvn_mxn_16_kernelILj52ELj13ELj2E21rocsparse_complex_numIdEEEvi20rocsparse_direction_NS_24const_host_device_scalarIT2_EEPKiS8_PKS5_iiSA_S6_PS5_21rocsparse_index_base_b,"axG",@progbits,_ZN9rocsparseL22gebsrmvn_mxn_16_kernelILj52ELj13ELj2E21rocsparse_complex_numIdEEEvi20rocsparse_direction_NS_24const_host_device_scalarIT2_EEPKiS8_PKS5_iiSA_S6_PS5_21rocsparse_index_base_b,comdat
.Lfunc_end103:
	.size	_ZN9rocsparseL22gebsrmvn_mxn_16_kernelILj52ELj13ELj2E21rocsparse_complex_numIdEEEvi20rocsparse_direction_NS_24const_host_device_scalarIT2_EEPKiS8_PKS5_iiSA_S6_PS5_21rocsparse_index_base_b, .Lfunc_end103-_ZN9rocsparseL22gebsrmvn_mxn_16_kernelILj52ELj13ELj2E21rocsparse_complex_numIdEEEvi20rocsparse_direction_NS_24const_host_device_scalarIT2_EEPKiS8_PKS5_iiSA_S6_PS5_21rocsparse_index_base_b
                                        ; -- End function
	.section	.AMDGPU.csdata,"",@progbits
; Kernel info:
; codeLenInByte = 1428
; NumSgprs: 20
; NumVgprs: 28
; ScratchSize: 0
; MemoryBound: 0
; FloatMode: 240
; IeeeMode: 1
; LDSByteSize: 1664 bytes/workgroup (compile time only)
; SGPRBlocks: 2
; VGPRBlocks: 3
; NumSGPRsForWavesPerEU: 20
; NumVGPRsForWavesPerEU: 28
; Occupancy: 16
; WaveLimiterHint : 1
; COMPUTE_PGM_RSRC2:SCRATCH_EN: 0
; COMPUTE_PGM_RSRC2:USER_SGPR: 15
; COMPUTE_PGM_RSRC2:TRAP_HANDLER: 0
; COMPUTE_PGM_RSRC2:TGID_X_EN: 1
; COMPUTE_PGM_RSRC2:TGID_Y_EN: 0
; COMPUTE_PGM_RSRC2:TGID_Z_EN: 0
; COMPUTE_PGM_RSRC2:TIDIG_COMP_CNT: 2
	.section	.text._ZN9rocsparseL22gebsrmvn_mxn_16_kernelILj39ELj13ELj3E21rocsparse_complex_numIdEEEvi20rocsparse_direction_NS_24const_host_device_scalarIT2_EEPKiS8_PKS5_iiSA_S6_PS5_21rocsparse_index_base_b,"axG",@progbits,_ZN9rocsparseL22gebsrmvn_mxn_16_kernelILj39ELj13ELj3E21rocsparse_complex_numIdEEEvi20rocsparse_direction_NS_24const_host_device_scalarIT2_EEPKiS8_PKS5_iiSA_S6_PS5_21rocsparse_index_base_b,comdat
	.globl	_ZN9rocsparseL22gebsrmvn_mxn_16_kernelILj39ELj13ELj3E21rocsparse_complex_numIdEEEvi20rocsparse_direction_NS_24const_host_device_scalarIT2_EEPKiS8_PKS5_iiSA_S6_PS5_21rocsparse_index_base_b ; -- Begin function _ZN9rocsparseL22gebsrmvn_mxn_16_kernelILj39ELj13ELj3E21rocsparse_complex_numIdEEEvi20rocsparse_direction_NS_24const_host_device_scalarIT2_EEPKiS8_PKS5_iiSA_S6_PS5_21rocsparse_index_base_b
	.p2align	8
	.type	_ZN9rocsparseL22gebsrmvn_mxn_16_kernelILj39ELj13ELj3E21rocsparse_complex_numIdEEEvi20rocsparse_direction_NS_24const_host_device_scalarIT2_EEPKiS8_PKS5_iiSA_S6_PS5_21rocsparse_index_base_b,@function
_ZN9rocsparseL22gebsrmvn_mxn_16_kernelILj39ELj13ELj3E21rocsparse_complex_numIdEEEvi20rocsparse_direction_NS_24const_host_device_scalarIT2_EEPKiS8_PKS5_iiSA_S6_PS5_21rocsparse_index_base_b: ; @_ZN9rocsparseL22gebsrmvn_mxn_16_kernelILj39ELj13ELj3E21rocsparse_complex_numIdEEEvi20rocsparse_direction_NS_24const_host_device_scalarIT2_EEPKiS8_PKS5_iiSA_S6_PS5_21rocsparse_index_base_b
; %bb.0:
	s_mov_b32 s12, s15
	s_load_b64 s[14:15], s[2:3], 0x58
	s_load_b64 s[16:17], s[0:1], 0x4
	s_load_b128 s[8:11], s[2:3], 0x8
	v_bfe_u32 v1, v0, 10, 10
	s_mov_b64 s[0:1], src_shared_base
	s_load_b128 s[4:7], s[2:3], 0x40
	v_and_b32_e32 v8, 0x3ff, v0
	v_bfe_u32 v0, v0, 20, 10
	s_waitcnt lgkmcnt(0)
	s_bitcmp1_b32 s15, 0
	v_mul_u32_u24_e32 v1, s17, v1
	s_cselect_b32 s0, -1, 0
	v_mov_b32_e32 v16, s11
	s_and_b32 vcc_lo, s0, exec_lo
	s_cselect_b32 s13, s1, s9
	s_lshr_b32 s15, s16, 16
	v_dual_mov_b32 v2, s4 :: v_dual_mov_b32 v15, s10
	s_mul_i32 s15, s15, s17
	s_xor_b32 s10, s0, -1
	v_mad_u32_u24 v1, s15, v8, v1
	v_mov_b32_e32 v5, s13
	v_mov_b32_e32 v3, s5
	s_delay_alu instid0(VALU_DEP_3) | instskip(SKIP_1) | instid1(VALU_DEP_2)
	v_add_lshl_u32 v6, v1, v0, 3
	v_dual_mov_b32 v0, s8 :: v_dual_mov_b32 v1, s9
	v_add_nc_u32_e32 v4, 0x3a8, v6
	ds_store_2addr_b64 v6, v[2:3], v[0:1] offset0:78 offset1:117
	v_add_nc_u32_e32 v0, 0x270, v6
	v_cndmask_b32_e64 v4, s8, v4, s0
	flat_load_b64 v[13:14], v[4:5]
	s_cbranch_vccnz .LBB104_2
; %bb.1:
	v_dual_mov_b32 v1, s8 :: v_dual_mov_b32 v2, s9
	flat_load_b64 v[15:16], v[1:2] offset:8
.LBB104_2:
	s_and_b32 s8, s0, exec_lo
	s_cselect_b32 s1, s1, s5
	v_cndmask_b32_e64 v0, s4, v0, s0
	v_dual_mov_b32 v1, s1 :: v_dual_mov_b32 v12, s7
	v_mov_b32_e32 v11, s6
	s_and_not1_b32 vcc_lo, exec_lo, s10
	flat_load_b64 v[9:10], v[0:1]
	s_cbranch_vccnz .LBB104_4
; %bb.3:
	v_dual_mov_b32 v0, s4 :: v_dual_mov_b32 v1, s5
	flat_load_b64 v[11:12], v[0:1] offset:8
.LBB104_4:
	s_waitcnt vmcnt(1) lgkmcnt(1)
	v_cmp_eq_f64_e32 vcc_lo, 0, v[13:14]
	v_cmp_eq_f64_e64 s0, 0, v[15:16]
	s_delay_alu instid0(VALU_DEP_1)
	s_and_b32 s4, vcc_lo, s0
	s_mov_b32 s0, -1
	s_and_saveexec_b32 s1, s4
	s_cbranch_execz .LBB104_6
; %bb.5:
	s_waitcnt vmcnt(0) lgkmcnt(0)
	v_cmp_neq_f64_e32 vcc_lo, 1.0, v[9:10]
	v_cmp_neq_f64_e64 s0, 0, v[11:12]
	s_delay_alu instid0(VALU_DEP_1) | instskip(NEXT) | instid1(SALU_CYCLE_1)
	s_or_b32 s0, vcc_lo, s0
	s_or_not1_b32 s0, s0, exec_lo
.LBB104_6:
	s_or_b32 exec_lo, exec_lo, s1
	s_and_saveexec_b32 s1, s0
	s_cbranch_execz .LBB104_35
; %bb.7:
	v_mul_u32_u24_e32 v0, 0x5556, v8
	s_clause 0x1
	s_load_b32 s4, s[2:3], 0x4
	s_load_b64 s[0:1], s[2:3], 0x18
	s_delay_alu instid0(VALU_DEP_1) | instskip(NEXT) | instid1(VALU_DEP_1)
	v_lshrrev_b32_e32 v0, 16, v0
	v_mul_lo_u16 v0, v0, 3
	s_delay_alu instid0(VALU_DEP_1) | instskip(NEXT) | instid1(VALU_DEP_1)
	v_sub_nc_u16 v0, v8, v0
	v_and_b32_e32 v7, 0xffff, v0
	s_waitcnt lgkmcnt(0)
	s_cmp_lg_u32 s4, 1
	v_and_b32_e32 v5, 0xffff, v8
	s_cselect_b32 s15, -1, 0
	v_mov_b32_e32 v4, v7
	s_and_b32 vcc_lo, exec_lo, s15
	s_cbranch_vccnz .LBB104_9
; %bb.8:
	v_mul_u32_u24_e32 v0, 0x13b2, v5
	s_delay_alu instid0(VALU_DEP_1) | instskip(NEXT) | instid1(VALU_DEP_1)
	v_lshrrev_b32_e32 v0, 16, v0
	v_mul_lo_u16 v1, 0x56, v0
	s_delay_alu instid0(VALU_DEP_1) | instskip(NEXT) | instid1(VALU_DEP_1)
	v_lshrrev_b16 v1, 8, v1
	v_mul_lo_u16 v1, v1, 3
	s_delay_alu instid0(VALU_DEP_1) | instskip(NEXT) | instid1(VALU_DEP_1)
	v_sub_nc_u16 v0, v0, v1
	v_and_b32_e32 v4, 0xff, v0
.LBB104_9:
	s_ashr_i32 s13, s12, 31
	v_mov_b32_e32 v2, 0
	s_lshl_b64 s[4:5], s[12:13], 2
	v_mov_b32_e32 v3, 0
	s_add_u32 s0, s0, s4
	s_addc_u32 s1, s1, s5
	v_mov_b32_e32 v0, v2
	s_load_b64 s[10:11], s[0:1], 0x0
	s_load_b64 s[8:9], s[2:3], 0x50
	v_mov_b32_e32 v1, v3
	s_waitcnt lgkmcnt(0)
	s_cmp_ge_i32 s10, s11
	s_cbranch_scc1 .LBB104_14
; %bb.10:
	s_clause 0x1
	s_load_b128 s[4:7], s[2:3], 0x20
	s_load_b64 s[0:1], s[2:3], 0x38
	s_waitcnt vmcnt(0)
	v_mad_u64_u32 v[0:1], null, s10, 39, v[8:9]
	v_mov_b32_e32 v2, 0
	v_mul_u32_u24_e32 v1, 0x691, v5
	v_dual_mov_b32 v3, 0 :: v_dual_mov_b32 v6, 0
	s_mul_i32 s2, s14, 39
	s_sub_i32 s3, s10, s14
	s_delay_alu instid0(VALU_DEP_2)
	v_lshrrev_b32_e32 v19, 16, v1
	v_subrev_nc_u32_e32 v5, s2, v0
	v_dual_mov_b32 v0, v2 :: v_dual_mov_b32 v1, v3
	s_sub_i32 s2, s11, s14
	s_set_inst_prefetch_distance 0x1
	s_branch .LBB104_12
	.p2align	6
.LBB104_11:                             ;   in Loop: Header=BB104_12 Depth=1
	s_or_b32 exec_lo, exec_lo, s10
	v_add_nc_u32_e32 v5, 39, v5
	s_add_i32 s3, s3, 1
	s_delay_alu instid0(SALU_CYCLE_1)
	s_cmp_ge_i32 s3, s2
	s_cbranch_scc1 .LBB104_14
.LBB104_12:                             ; =>This Inner Loop Header: Depth=1
	v_add_nc_u32_e32 v17, s3, v19
	s_mov_b32 s10, exec_lo
	s_delay_alu instid0(VALU_DEP_1)
	v_cmpx_gt_i32_e64 s2, v17
	s_cbranch_execz .LBB104_11
; %bb.13:                               ;   in Loop: Header=BB104_12 Depth=1
	v_ashrrev_i32_e32 v18, 31, v17
	s_delay_alu instid0(VALU_DEP_1) | instskip(SKIP_1) | instid1(VALU_DEP_1)
	v_lshlrev_b64 v[17:18], 2, v[17:18]
	s_waitcnt lgkmcnt(0)
	v_add_co_u32 v17, vcc_lo, s4, v17
	s_delay_alu instid0(VALU_DEP_2) | instskip(SKIP_3) | instid1(VALU_DEP_1)
	v_add_co_ci_u32_e32 v18, vcc_lo, s5, v18, vcc_lo
	global_load_b32 v17, v[17:18], off
	s_waitcnt vmcnt(0)
	v_subrev_nc_u32_e32 v20, s14, v17
	v_mad_u64_u32 v[17:18], null, v20, 3, v[4:5]
	v_lshlrev_b64 v[20:21], 4, v[5:6]
	s_delay_alu instid0(VALU_DEP_1) | instskip(NEXT) | instid1(VALU_DEP_3)
	v_add_co_u32 v20, vcc_lo, s6, v20
	v_ashrrev_i32_e32 v18, 31, v17
	s_delay_alu instid0(VALU_DEP_3) | instskip(NEXT) | instid1(VALU_DEP_2)
	v_add_co_ci_u32_e32 v21, vcc_lo, s7, v21, vcc_lo
	v_lshlrev_b64 v[17:18], 4, v[17:18]
	s_delay_alu instid0(VALU_DEP_1) | instskip(NEXT) | instid1(VALU_DEP_2)
	v_add_co_u32 v17, vcc_lo, s0, v17
	v_add_co_ci_u32_e32 v18, vcc_lo, s1, v18, vcc_lo
	global_load_b128 v[20:23], v[20:21], off
	global_load_b128 v[24:27], v[17:18], off
	s_waitcnt vmcnt(0)
	v_fma_f64 v[0:1], v[20:21], v[24:25], v[0:1]
	v_fma_f64 v[2:3], v[22:23], v[24:25], v[2:3]
	s_delay_alu instid0(VALU_DEP_2) | instskip(NEXT) | instid1(VALU_DEP_2)
	v_fma_f64 v[0:1], -v[22:23], v[26:27], v[0:1]
	v_fma_f64 v[2:3], v[20:21], v[26:27], v[2:3]
	s_branch .LBB104_11
.LBB104_14:
	s_set_inst_prefetch_distance 0x2
	v_lshlrev_b32_e32 v17, 4, v8
	s_and_b32 vcc_lo, exec_lo, s15
	ds_store_b128 v17, v[0:3]
	s_waitcnt vmcnt(0) lgkmcnt(0)
	s_barrier
	buffer_gl0_inv
	s_cbranch_vccz .LBB104_22
; %bb.15:
	v_cmp_eq_u16_e32 vcc_lo, 0, v7
	s_and_saveexec_b32 s0, vcc_lo
	s_cbranch_execz .LBB104_17
; %bb.16:
	ds_load_b128 v[4:7], v17
	ds_load_b128 v[18:21], v17 offset:32
	s_waitcnt lgkmcnt(0)
	v_add_f64 v[4:5], v[18:19], v[4:5]
	v_add_f64 v[6:7], v[20:21], v[6:7]
	ds_store_b128 v17, v[4:7]
.LBB104_17:
	s_or_b32 exec_lo, exec_lo, s0
	s_waitcnt lgkmcnt(0)
	s_barrier
	buffer_gl0_inv
	s_and_saveexec_b32 s0, vcc_lo
	s_cbranch_execz .LBB104_19
; %bb.18:
	ds_load_b128 v[4:7], v17
	ds_load_b128 v[18:21], v17 offset:16
	s_waitcnt lgkmcnt(0)
	v_add_f64 v[4:5], v[18:19], v[4:5]
	v_add_f64 v[6:7], v[20:21], v[6:7]
	ds_store_b128 v17, v[4:7]
.LBB104_19:
	s_or_b32 exec_lo, exec_lo, s0
	v_dual_mov_b32 v7, v3 :: v_dual_mov_b32 v6, v2
	v_dual_mov_b32 v5, v1 :: v_dual_mov_b32 v4, v0
	s_mov_b32 s0, exec_lo
	s_waitcnt lgkmcnt(0)
	s_barrier
	buffer_gl0_inv
	v_cmpx_gt_u32_e32 13, v8
	s_cbranch_execz .LBB104_21
; %bb.20:
	v_lshl_add_u32 v4, v8, 5, v17
	ds_load_b128 v[4:7], v4
.LBB104_21:
	s_or_b32 exec_lo, exec_lo, s0
	v_cmp_gt_u32_e64 s0, 13, v8
	s_branch .LBB104_30
.LBB104_22:
                                        ; implicit-def: $vgpr6_vgpr7
	v_cmp_gt_u32_e64 s0, 13, v8
	s_cbranch_execz .LBB104_30
; %bb.23:
	v_cmp_lt_u32_e32 vcc_lo, 12, v8
	s_delay_alu instid0(VALU_DEP_2)
	s_and_saveexec_b32 s1, s0
	s_cbranch_execz .LBB104_25
; %bb.24:
	s_waitcnt lgkmcnt(0)
	ds_load_b128 v[4:7], v17 offset:416
	ds_load_b128 v[18:21], v17
	s_waitcnt lgkmcnt(0)
	v_add_f64 v[4:5], v[4:5], v[18:19]
	v_add_f64 v[6:7], v[6:7], v[20:21]
	ds_store_b128 v17, v[4:7]
.LBB104_25:
	s_or_b32 exec_lo, exec_lo, s1
	s_waitcnt lgkmcnt(0)
	s_barrier
	buffer_gl0_inv
	s_and_saveexec_b32 s0, vcc_lo
	s_delay_alu instid0(SALU_CYCLE_1)
	s_xor_b32 s0, exec_lo, s0
	s_cbranch_execz .LBB104_27
; %bb.26:
	buffer_gl0_inv
                                        ; implicit-def: $vgpr17
.LBB104_27:
	s_and_not1_saveexec_b32 s0, s0
	s_cbranch_execz .LBB104_29
; %bb.28:
	ds_load_b128 v[0:3], v17 offset:208
	ds_load_b128 v[4:7], v17
	s_waitcnt lgkmcnt(0)
	v_add_f64 v[0:1], v[0:1], v[4:5]
	v_add_f64 v[2:3], v[2:3], v[6:7]
	ds_store_b128 v17, v[0:3]
	s_waitcnt lgkmcnt(0)
	buffer_gl0_inv
	ds_load_b128 v[0:3], v17
.LBB104_29:
	s_or_b32 exec_lo, exec_lo, s0
	s_waitcnt lgkmcnt(0)
	v_dual_mov_b32 v7, v3 :: v_dual_mov_b32 v6, v2
	v_dual_mov_b32 v5, v1 :: v_dual_mov_b32 v4, v0
.LBB104_30:
	v_cmp_gt_u32_e32 vcc_lo, 13, v8
	s_and_b32 exec_lo, exec_lo, vcc_lo
	s_cbranch_execz .LBB104_35
; %bb.31:
	s_waitcnt lgkmcnt(0)
	v_mul_f64 v[0:1], v[6:7], -v[15:16]
	v_mul_f64 v[2:3], v[13:14], v[6:7]
	v_cmp_eq_f64_e32 vcc_lo, 0, v[9:10]
	v_cmp_eq_f64_e64 s0, 0, v[11:12]
	s_delay_alu instid0(VALU_DEP_4) | instskip(NEXT) | instid1(VALU_DEP_4)
	v_fma_f64 v[0:1], v[13:14], v[4:5], v[0:1]
	v_fma_f64 v[2:3], v[15:16], v[4:5], v[2:3]
	s_delay_alu instid0(VALU_DEP_3) | instskip(NEXT) | instid1(SALU_CYCLE_1)
	s_and_b32 s0, vcc_lo, s0
	s_and_saveexec_b32 s1, s0
	s_delay_alu instid0(SALU_CYCLE_1)
	s_xor_b32 s0, exec_lo, s1
	s_cbranch_execz .LBB104_33
; %bb.32:
	v_mad_u64_u32 v[4:5], null, s12, 13, v[8:9]
	v_mov_b32_e32 v5, 0
                                        ; implicit-def: $vgpr8
                                        ; implicit-def: $vgpr9_vgpr10
                                        ; implicit-def: $vgpr11_vgpr12
	s_delay_alu instid0(VALU_DEP_1) | instskip(NEXT) | instid1(VALU_DEP_1)
	v_lshlrev_b64 v[4:5], 4, v[4:5]
	v_add_co_u32 v4, vcc_lo, s8, v4
	s_delay_alu instid0(VALU_DEP_2)
	v_add_co_ci_u32_e32 v5, vcc_lo, s9, v5, vcc_lo
	global_store_b128 v[4:5], v[0:3], off
                                        ; implicit-def: $vgpr0_vgpr1
.LBB104_33:
	s_and_not1_saveexec_b32 s0, s0
	s_cbranch_execz .LBB104_35
; %bb.34:
	v_mad_u64_u32 v[4:5], null, s12, 13, v[8:9]
	v_mov_b32_e32 v5, 0
	s_delay_alu instid0(VALU_DEP_1) | instskip(NEXT) | instid1(VALU_DEP_1)
	v_lshlrev_b64 v[4:5], 4, v[4:5]
	v_add_co_u32 v13, vcc_lo, s8, v4
	s_delay_alu instid0(VALU_DEP_2) | instskip(SKIP_4) | instid1(VALU_DEP_2)
	v_add_co_ci_u32_e32 v14, vcc_lo, s9, v5, vcc_lo
	global_load_b128 v[4:7], v[13:14], off
	s_waitcnt vmcnt(0)
	v_fma_f64 v[0:1], v[9:10], v[4:5], v[0:1]
	v_fma_f64 v[2:3], v[11:12], v[4:5], v[2:3]
	v_fma_f64 v[0:1], -v[11:12], v[6:7], v[0:1]
	s_delay_alu instid0(VALU_DEP_2)
	v_fma_f64 v[2:3], v[9:10], v[6:7], v[2:3]
	global_store_b128 v[13:14], v[0:3], off
.LBB104_35:
	s_nop 0
	s_sendmsg sendmsg(MSG_DEALLOC_VGPRS)
	s_endpgm
	.section	.rodata,"a",@progbits
	.p2align	6, 0x0
	.amdhsa_kernel _ZN9rocsparseL22gebsrmvn_mxn_16_kernelILj39ELj13ELj3E21rocsparse_complex_numIdEEEvi20rocsparse_direction_NS_24const_host_device_scalarIT2_EEPKiS8_PKS5_iiSA_S6_PS5_21rocsparse_index_base_b
		.amdhsa_group_segment_fixed_size 1248
		.amdhsa_private_segment_fixed_size 0
		.amdhsa_kernarg_size 96
		.amdhsa_user_sgpr_count 15
		.amdhsa_user_sgpr_dispatch_ptr 1
		.amdhsa_user_sgpr_queue_ptr 0
		.amdhsa_user_sgpr_kernarg_segment_ptr 1
		.amdhsa_user_sgpr_dispatch_id 0
		.amdhsa_user_sgpr_private_segment_size 0
		.amdhsa_wavefront_size32 1
		.amdhsa_uses_dynamic_stack 0
		.amdhsa_enable_private_segment 0
		.amdhsa_system_sgpr_workgroup_id_x 1
		.amdhsa_system_sgpr_workgroup_id_y 0
		.amdhsa_system_sgpr_workgroup_id_z 0
		.amdhsa_system_sgpr_workgroup_info 0
		.amdhsa_system_vgpr_workitem_id 2
		.amdhsa_next_free_vgpr 28
		.amdhsa_next_free_sgpr 18
		.amdhsa_reserve_vcc 1
		.amdhsa_float_round_mode_32 0
		.amdhsa_float_round_mode_16_64 0
		.amdhsa_float_denorm_mode_32 3
		.amdhsa_float_denorm_mode_16_64 3
		.amdhsa_dx10_clamp 1
		.amdhsa_ieee_mode 1
		.amdhsa_fp16_overflow 0
		.amdhsa_workgroup_processor_mode 1
		.amdhsa_memory_ordered 1
		.amdhsa_forward_progress 0
		.amdhsa_shared_vgpr_count 0
		.amdhsa_exception_fp_ieee_invalid_op 0
		.amdhsa_exception_fp_denorm_src 0
		.amdhsa_exception_fp_ieee_div_zero 0
		.amdhsa_exception_fp_ieee_overflow 0
		.amdhsa_exception_fp_ieee_underflow 0
		.amdhsa_exception_fp_ieee_inexact 0
		.amdhsa_exception_int_div_zero 0
	.end_amdhsa_kernel
	.section	.text._ZN9rocsparseL22gebsrmvn_mxn_16_kernelILj39ELj13ELj3E21rocsparse_complex_numIdEEEvi20rocsparse_direction_NS_24const_host_device_scalarIT2_EEPKiS8_PKS5_iiSA_S6_PS5_21rocsparse_index_base_b,"axG",@progbits,_ZN9rocsparseL22gebsrmvn_mxn_16_kernelILj39ELj13ELj3E21rocsparse_complex_numIdEEEvi20rocsparse_direction_NS_24const_host_device_scalarIT2_EEPKiS8_PKS5_iiSA_S6_PS5_21rocsparse_index_base_b,comdat
.Lfunc_end104:
	.size	_ZN9rocsparseL22gebsrmvn_mxn_16_kernelILj39ELj13ELj3E21rocsparse_complex_numIdEEEvi20rocsparse_direction_NS_24const_host_device_scalarIT2_EEPKiS8_PKS5_iiSA_S6_PS5_21rocsparse_index_base_b, .Lfunc_end104-_ZN9rocsparseL22gebsrmvn_mxn_16_kernelILj39ELj13ELj3E21rocsparse_complex_numIdEEEvi20rocsparse_direction_NS_24const_host_device_scalarIT2_EEPKiS8_PKS5_iiSA_S6_PS5_21rocsparse_index_base_b
                                        ; -- End function
	.section	.AMDGPU.csdata,"",@progbits
; Kernel info:
; codeLenInByte = 1600
; NumSgprs: 20
; NumVgprs: 28
; ScratchSize: 0
; MemoryBound: 0
; FloatMode: 240
; IeeeMode: 1
; LDSByteSize: 1248 bytes/workgroup (compile time only)
; SGPRBlocks: 2
; VGPRBlocks: 3
; NumSGPRsForWavesPerEU: 20
; NumVGPRsForWavesPerEU: 28
; Occupancy: 16
; WaveLimiterHint : 1
; COMPUTE_PGM_RSRC2:SCRATCH_EN: 0
; COMPUTE_PGM_RSRC2:USER_SGPR: 15
; COMPUTE_PGM_RSRC2:TRAP_HANDLER: 0
; COMPUTE_PGM_RSRC2:TGID_X_EN: 1
; COMPUTE_PGM_RSRC2:TGID_Y_EN: 0
; COMPUTE_PGM_RSRC2:TGID_Z_EN: 0
; COMPUTE_PGM_RSRC2:TIDIG_COMP_CNT: 2
	.section	.text._ZN9rocsparseL22gebsrmvn_mxn_16_kernelILj52ELj13ELj4E21rocsparse_complex_numIdEEEvi20rocsparse_direction_NS_24const_host_device_scalarIT2_EEPKiS8_PKS5_iiSA_S6_PS5_21rocsparse_index_base_b,"axG",@progbits,_ZN9rocsparseL22gebsrmvn_mxn_16_kernelILj52ELj13ELj4E21rocsparse_complex_numIdEEEvi20rocsparse_direction_NS_24const_host_device_scalarIT2_EEPKiS8_PKS5_iiSA_S6_PS5_21rocsparse_index_base_b,comdat
	.globl	_ZN9rocsparseL22gebsrmvn_mxn_16_kernelILj52ELj13ELj4E21rocsparse_complex_numIdEEEvi20rocsparse_direction_NS_24const_host_device_scalarIT2_EEPKiS8_PKS5_iiSA_S6_PS5_21rocsparse_index_base_b ; -- Begin function _ZN9rocsparseL22gebsrmvn_mxn_16_kernelILj52ELj13ELj4E21rocsparse_complex_numIdEEEvi20rocsparse_direction_NS_24const_host_device_scalarIT2_EEPKiS8_PKS5_iiSA_S6_PS5_21rocsparse_index_base_b
	.p2align	8
	.type	_ZN9rocsparseL22gebsrmvn_mxn_16_kernelILj52ELj13ELj4E21rocsparse_complex_numIdEEEvi20rocsparse_direction_NS_24const_host_device_scalarIT2_EEPKiS8_PKS5_iiSA_S6_PS5_21rocsparse_index_base_b,@function
_ZN9rocsparseL22gebsrmvn_mxn_16_kernelILj52ELj13ELj4E21rocsparse_complex_numIdEEEvi20rocsparse_direction_NS_24const_host_device_scalarIT2_EEPKiS8_PKS5_iiSA_S6_PS5_21rocsparse_index_base_b: ; @_ZN9rocsparseL22gebsrmvn_mxn_16_kernelILj52ELj13ELj4E21rocsparse_complex_numIdEEEvi20rocsparse_direction_NS_24const_host_device_scalarIT2_EEPKiS8_PKS5_iiSA_S6_PS5_21rocsparse_index_base_b
; %bb.0:
	s_mov_b32 s12, s15
	s_load_b64 s[14:15], s[2:3], 0x58
	s_load_b64 s[16:17], s[0:1], 0x4
	s_load_b128 s[8:11], s[2:3], 0x8
	v_bfe_u32 v1, v0, 10, 10
	s_mov_b64 s[0:1], src_shared_base
	s_load_b128 s[4:7], s[2:3], 0x40
	v_and_b32_e32 v8, 0x3ff, v0
	v_bfe_u32 v0, v0, 20, 10
	s_waitcnt lgkmcnt(0)
	s_bitcmp1_b32 s15, 0
	v_mul_u32_u24_e32 v1, s17, v1
	s_cselect_b32 s0, -1, 0
	v_mov_b32_e32 v16, s11
	s_and_b32 vcc_lo, s0, exec_lo
	s_cselect_b32 s13, s1, s9
	s_lshr_b32 s15, s16, 16
	v_dual_mov_b32 v2, s4 :: v_dual_mov_b32 v15, s10
	s_mul_i32 s15, s15, s17
	s_xor_b32 s10, s0, -1
	v_mad_u32_u24 v1, s15, v8, v1
	v_mov_b32_e32 v5, s13
	v_mov_b32_e32 v3, s5
	s_delay_alu instid0(VALU_DEP_3) | instskip(SKIP_1) | instid1(VALU_DEP_2)
	v_add_lshl_u32 v6, v1, v0, 3
	v_dual_mov_b32 v0, s8 :: v_dual_mov_b32 v1, s9
	v_add_nc_u32_e32 v4, 0x4e0, v6
	ds_store_2addr_b64 v6, v[2:3], v[0:1] offset0:104 offset1:156
	v_add_nc_u32_e32 v0, 0x340, v6
	v_cndmask_b32_e64 v4, s8, v4, s0
	flat_load_b64 v[13:14], v[4:5]
	s_cbranch_vccnz .LBB105_2
; %bb.1:
	v_dual_mov_b32 v1, s8 :: v_dual_mov_b32 v2, s9
	flat_load_b64 v[15:16], v[1:2] offset:8
.LBB105_2:
	s_and_b32 s8, s0, exec_lo
	s_cselect_b32 s1, s1, s5
	v_cndmask_b32_e64 v0, s4, v0, s0
	v_dual_mov_b32 v1, s1 :: v_dual_mov_b32 v12, s7
	v_mov_b32_e32 v11, s6
	s_and_not1_b32 vcc_lo, exec_lo, s10
	flat_load_b64 v[9:10], v[0:1]
	s_cbranch_vccnz .LBB105_4
; %bb.3:
	v_dual_mov_b32 v0, s4 :: v_dual_mov_b32 v1, s5
	flat_load_b64 v[11:12], v[0:1] offset:8
.LBB105_4:
	s_waitcnt vmcnt(1) lgkmcnt(1)
	v_cmp_eq_f64_e32 vcc_lo, 0, v[13:14]
	v_cmp_eq_f64_e64 s0, 0, v[15:16]
	s_delay_alu instid0(VALU_DEP_1)
	s_and_b32 s4, vcc_lo, s0
	s_mov_b32 s0, -1
	s_and_saveexec_b32 s1, s4
	s_cbranch_execz .LBB105_6
; %bb.5:
	s_waitcnt vmcnt(0) lgkmcnt(0)
	v_cmp_neq_f64_e32 vcc_lo, 1.0, v[9:10]
	v_cmp_neq_f64_e64 s0, 0, v[11:12]
	s_delay_alu instid0(VALU_DEP_1) | instskip(NEXT) | instid1(SALU_CYCLE_1)
	s_or_b32 s0, vcc_lo, s0
	s_or_not1_b32 s0, s0, exec_lo
.LBB105_6:
	s_or_b32 exec_lo, exec_lo, s1
	s_and_saveexec_b32 s1, s0
	s_cbranch_execz .LBB105_35
; %bb.7:
	s_clause 0x1
	s_load_b32 s4, s[2:3], 0x4
	s_load_b64 s[0:1], s[2:3], 0x18
	v_and_b32_e32 v18, 3, v8
	s_delay_alu instid0(VALU_DEP_1) | instskip(SKIP_3) | instid1(SALU_CYCLE_1)
	v_mov_b32_e32 v17, v18
	s_waitcnt lgkmcnt(0)
	s_cmp_lg_u32 s4, 1
	s_cselect_b32 s15, -1, 0
	s_and_b32 vcc_lo, exec_lo, s15
	s_cbranch_vccnz .LBB105_9
; %bb.8:
	v_mul_u32_u24_e32 v0, 0x13b2, v8
	s_delay_alu instid0(VALU_DEP_1)
	v_bfe_u32 v17, v0, 16, 2
.LBB105_9:
	s_ashr_i32 s13, s12, 31
	v_mov_b32_e32 v2, 0
	s_lshl_b64 s[4:5], s[12:13], 2
	v_mov_b32_e32 v3, 0
	s_add_u32 s0, s0, s4
	s_addc_u32 s1, s1, s5
	v_mov_b32_e32 v0, v2
	s_load_b64 s[10:11], s[0:1], 0x0
	s_load_b64 s[8:9], s[2:3], 0x50
	v_mov_b32_e32 v1, v3
	s_waitcnt lgkmcnt(0)
	s_cmp_ge_i32 s10, s11
	s_cbranch_scc1 .LBB105_14
; %bb.10:
	s_clause 0x1
	s_load_b128 s[4:7], s[2:3], 0x20
	s_load_b64 s[0:1], s[2:3], 0x38
	s_waitcnt vmcnt(0)
	v_mad_u64_u32 v[0:1], null, s10, 52, v[8:9]
	v_dual_mov_b32 v2, 0 :: v_dual_mov_b32 v5, 0
	v_mul_u32_u24_e32 v1, 0x4ed, v8
	v_mov_b32_e32 v3, 0
	s_mul_i32 s2, s14, 52
	s_sub_i32 s3, s10, s14
	s_delay_alu instid0(VALU_DEP_4)
	v_subrev_nc_u32_e32 v4, s2, v0
	v_lshrrev_b32_e32 v19, 16, v1
	v_dual_mov_b32 v0, v2 :: v_dual_mov_b32 v1, v3
	s_sub_i32 s2, s11, s14
	s_set_inst_prefetch_distance 0x1
	s_branch .LBB105_12
	.p2align	6
.LBB105_11:                             ;   in Loop: Header=BB105_12 Depth=1
	s_or_b32 exec_lo, exec_lo, s10
	v_add_nc_u32_e32 v4, 52, v4
	s_add_i32 s3, s3, 1
	s_delay_alu instid0(SALU_CYCLE_1)
	s_cmp_ge_i32 s3, s2
	s_cbranch_scc1 .LBB105_14
.LBB105_12:                             ; =>This Inner Loop Header: Depth=1
	v_add_nc_u32_e32 v6, s3, v19
	s_mov_b32 s10, exec_lo
	s_delay_alu instid0(VALU_DEP_1)
	v_cmpx_gt_i32_e64 s2, v6
	s_cbranch_execz .LBB105_11
; %bb.13:                               ;   in Loop: Header=BB105_12 Depth=1
	v_ashrrev_i32_e32 v7, 31, v6
	v_lshlrev_b64 v[20:21], 4, v[4:5]
	s_delay_alu instid0(VALU_DEP_2) | instskip(SKIP_1) | instid1(VALU_DEP_1)
	v_lshlrev_b64 v[6:7], 2, v[6:7]
	s_waitcnt lgkmcnt(0)
	v_add_co_u32 v6, vcc_lo, s4, v6
	s_delay_alu instid0(VALU_DEP_2) | instskip(NEXT) | instid1(VALU_DEP_4)
	v_add_co_ci_u32_e32 v7, vcc_lo, s5, v7, vcc_lo
	v_add_co_u32 v20, vcc_lo, s6, v20
	v_add_co_ci_u32_e32 v21, vcc_lo, s7, v21, vcc_lo
	global_load_b32 v6, v[6:7], off
	s_waitcnt vmcnt(0)
	v_subrev_nc_u32_e32 v6, s14, v6
	s_delay_alu instid0(VALU_DEP_1) | instskip(NEXT) | instid1(VALU_DEP_1)
	v_lshl_or_b32 v6, v6, 2, v17
	v_ashrrev_i32_e32 v7, 31, v6
	s_delay_alu instid0(VALU_DEP_1) | instskip(NEXT) | instid1(VALU_DEP_1)
	v_lshlrev_b64 v[6:7], 4, v[6:7]
	v_add_co_u32 v6, vcc_lo, s0, v6
	s_delay_alu instid0(VALU_DEP_2)
	v_add_co_ci_u32_e32 v7, vcc_lo, s1, v7, vcc_lo
	global_load_b128 v[20:23], v[20:21], off
	global_load_b128 v[24:27], v[6:7], off
	s_waitcnt vmcnt(0)
	v_fma_f64 v[0:1], v[20:21], v[24:25], v[0:1]
	v_fma_f64 v[2:3], v[22:23], v[24:25], v[2:3]
	s_delay_alu instid0(VALU_DEP_2) | instskip(NEXT) | instid1(VALU_DEP_2)
	v_fma_f64 v[0:1], -v[22:23], v[26:27], v[0:1]
	v_fma_f64 v[2:3], v[20:21], v[26:27], v[2:3]
	s_branch .LBB105_11
.LBB105_14:
	s_set_inst_prefetch_distance 0x2
	v_lshlrev_b32_e32 v17, 4, v8
	s_and_b32 vcc_lo, exec_lo, s15
	ds_store_b128 v17, v[0:3]
	s_waitcnt vmcnt(0) lgkmcnt(0)
	s_barrier
	buffer_gl0_inv
	s_cbranch_vccz .LBB105_22
; %bb.15:
	s_mov_b32 s0, exec_lo
	v_cmpx_gt_u32_e32 2, v18
	s_cbranch_execz .LBB105_17
; %bb.16:
	ds_load_b128 v[4:7], v17
	ds_load_b128 v[19:22], v17 offset:32
	s_waitcnt lgkmcnt(0)
	v_add_f64 v[4:5], v[19:20], v[4:5]
	v_add_f64 v[6:7], v[21:22], v[6:7]
	ds_store_b128 v17, v[4:7]
.LBB105_17:
	s_or_b32 exec_lo, exec_lo, s0
	s_delay_alu instid0(SALU_CYCLE_1)
	s_mov_b32 s0, exec_lo
	s_waitcnt lgkmcnt(0)
	s_barrier
	buffer_gl0_inv
	v_cmpx_eq_u32_e32 0, v18
	s_cbranch_execz .LBB105_19
; %bb.18:
	ds_load_b128 v[4:7], v17
	ds_load_b128 v[18:21], v17 offset:16
	s_waitcnt lgkmcnt(0)
	v_add_f64 v[4:5], v[18:19], v[4:5]
	v_add_f64 v[6:7], v[20:21], v[6:7]
	ds_store_b128 v17, v[4:7]
.LBB105_19:
	s_or_b32 exec_lo, exec_lo, s0
	v_dual_mov_b32 v7, v3 :: v_dual_mov_b32 v6, v2
	v_dual_mov_b32 v5, v1 :: v_dual_mov_b32 v4, v0
	s_mov_b32 s0, exec_lo
	s_waitcnt lgkmcnt(0)
	s_barrier
	buffer_gl0_inv
	v_cmpx_gt_u32_e32 13, v8
	s_cbranch_execz .LBB105_21
; %bb.20:
	v_mad_u32_u24 v4, v8, 48, v17
	ds_load_b128 v[4:7], v4
.LBB105_21:
	s_or_b32 exec_lo, exec_lo, s0
	s_branch .LBB105_30
.LBB105_22:
                                        ; implicit-def: $vgpr6_vgpr7
	s_cbranch_execz .LBB105_30
; %bb.23:
	s_mov_b32 s0, exec_lo
	v_cmpx_gt_u32_e32 26, v8
	s_cbranch_execz .LBB105_25
; %bb.24:
	s_waitcnt lgkmcnt(0)
	ds_load_b128 v[4:7], v17 offset:416
	ds_load_b128 v[18:21], v17
	s_waitcnt lgkmcnt(0)
	v_add_f64 v[4:5], v[4:5], v[18:19]
	v_add_f64 v[6:7], v[6:7], v[20:21]
	ds_store_b128 v17, v[4:7]
.LBB105_25:
	s_or_b32 exec_lo, exec_lo, s0
	s_delay_alu instid0(SALU_CYCLE_1)
	s_mov_b32 s0, exec_lo
	s_waitcnt lgkmcnt(0)
	buffer_gl0_inv
	v_cmpx_lt_u32_e32 12, v8
	s_xor_b32 s0, exec_lo, s0
	s_cbranch_execz .LBB105_27
; %bb.26:
	buffer_gl0_inv
                                        ; implicit-def: $vgpr17
.LBB105_27:
	s_and_not1_saveexec_b32 s0, s0
	s_cbranch_execz .LBB105_29
; %bb.28:
	ds_load_b128 v[0:3], v17 offset:208
	ds_load_b128 v[4:7], v17
	s_waitcnt lgkmcnt(0)
	v_add_f64 v[0:1], v[0:1], v[4:5]
	v_add_f64 v[2:3], v[2:3], v[6:7]
	ds_store_b128 v17, v[0:3]
	s_waitcnt lgkmcnt(0)
	buffer_gl0_inv
	ds_load_b128 v[0:3], v17
.LBB105_29:
	s_or_b32 exec_lo, exec_lo, s0
	s_waitcnt lgkmcnt(0)
	v_dual_mov_b32 v7, v3 :: v_dual_mov_b32 v6, v2
	v_dual_mov_b32 v5, v1 :: v_dual_mov_b32 v4, v0
.LBB105_30:
	v_cmp_gt_u32_e32 vcc_lo, 13, v8
	s_and_b32 exec_lo, exec_lo, vcc_lo
	s_cbranch_execz .LBB105_35
; %bb.31:
	s_waitcnt lgkmcnt(0)
	v_mul_f64 v[0:1], v[6:7], -v[15:16]
	v_mul_f64 v[2:3], v[13:14], v[6:7]
	v_cmp_eq_f64_e32 vcc_lo, 0, v[9:10]
	v_cmp_eq_f64_e64 s0, 0, v[11:12]
	s_delay_alu instid0(VALU_DEP_4) | instskip(NEXT) | instid1(VALU_DEP_4)
	v_fma_f64 v[0:1], v[13:14], v[4:5], v[0:1]
	v_fma_f64 v[2:3], v[15:16], v[4:5], v[2:3]
	s_delay_alu instid0(VALU_DEP_3) | instskip(NEXT) | instid1(SALU_CYCLE_1)
	s_and_b32 s0, vcc_lo, s0
	s_and_saveexec_b32 s1, s0
	s_delay_alu instid0(SALU_CYCLE_1)
	s_xor_b32 s0, exec_lo, s1
	s_cbranch_execz .LBB105_33
; %bb.32:
	v_mad_u64_u32 v[4:5], null, s12, 13, v[8:9]
	v_mov_b32_e32 v5, 0
                                        ; implicit-def: $vgpr8
                                        ; implicit-def: $vgpr9_vgpr10
                                        ; implicit-def: $vgpr11_vgpr12
	s_delay_alu instid0(VALU_DEP_1) | instskip(NEXT) | instid1(VALU_DEP_1)
	v_lshlrev_b64 v[4:5], 4, v[4:5]
	v_add_co_u32 v4, vcc_lo, s8, v4
	s_delay_alu instid0(VALU_DEP_2)
	v_add_co_ci_u32_e32 v5, vcc_lo, s9, v5, vcc_lo
	global_store_b128 v[4:5], v[0:3], off
                                        ; implicit-def: $vgpr0_vgpr1
.LBB105_33:
	s_and_not1_saveexec_b32 s0, s0
	s_cbranch_execz .LBB105_35
; %bb.34:
	v_mad_u64_u32 v[4:5], null, s12, 13, v[8:9]
	v_mov_b32_e32 v5, 0
	s_delay_alu instid0(VALU_DEP_1) | instskip(NEXT) | instid1(VALU_DEP_1)
	v_lshlrev_b64 v[4:5], 4, v[4:5]
	v_add_co_u32 v13, vcc_lo, s8, v4
	s_delay_alu instid0(VALU_DEP_2) | instskip(SKIP_4) | instid1(VALU_DEP_2)
	v_add_co_ci_u32_e32 v14, vcc_lo, s9, v5, vcc_lo
	global_load_b128 v[4:7], v[13:14], off
	s_waitcnt vmcnt(0)
	v_fma_f64 v[0:1], v[9:10], v[4:5], v[0:1]
	v_fma_f64 v[2:3], v[11:12], v[4:5], v[2:3]
	v_fma_f64 v[0:1], -v[11:12], v[6:7], v[0:1]
	s_delay_alu instid0(VALU_DEP_2)
	v_fma_f64 v[2:3], v[9:10], v[6:7], v[2:3]
	global_store_b128 v[13:14], v[0:3], off
.LBB105_35:
	s_nop 0
	s_sendmsg sendmsg(MSG_DEALLOC_VGPRS)
	s_endpgm
	.section	.rodata,"a",@progbits
	.p2align	6, 0x0
	.amdhsa_kernel _ZN9rocsparseL22gebsrmvn_mxn_16_kernelILj52ELj13ELj4E21rocsparse_complex_numIdEEEvi20rocsparse_direction_NS_24const_host_device_scalarIT2_EEPKiS8_PKS5_iiSA_S6_PS5_21rocsparse_index_base_b
		.amdhsa_group_segment_fixed_size 1664
		.amdhsa_private_segment_fixed_size 0
		.amdhsa_kernarg_size 96
		.amdhsa_user_sgpr_count 15
		.amdhsa_user_sgpr_dispatch_ptr 1
		.amdhsa_user_sgpr_queue_ptr 0
		.amdhsa_user_sgpr_kernarg_segment_ptr 1
		.amdhsa_user_sgpr_dispatch_id 0
		.amdhsa_user_sgpr_private_segment_size 0
		.amdhsa_wavefront_size32 1
		.amdhsa_uses_dynamic_stack 0
		.amdhsa_enable_private_segment 0
		.amdhsa_system_sgpr_workgroup_id_x 1
		.amdhsa_system_sgpr_workgroup_id_y 0
		.amdhsa_system_sgpr_workgroup_id_z 0
		.amdhsa_system_sgpr_workgroup_info 0
		.amdhsa_system_vgpr_workitem_id 2
		.amdhsa_next_free_vgpr 28
		.amdhsa_next_free_sgpr 18
		.amdhsa_reserve_vcc 1
		.amdhsa_float_round_mode_32 0
		.amdhsa_float_round_mode_16_64 0
		.amdhsa_float_denorm_mode_32 3
		.amdhsa_float_denorm_mode_16_64 3
		.amdhsa_dx10_clamp 1
		.amdhsa_ieee_mode 1
		.amdhsa_fp16_overflow 0
		.amdhsa_workgroup_processor_mode 1
		.amdhsa_memory_ordered 1
		.amdhsa_forward_progress 0
		.amdhsa_shared_vgpr_count 0
		.amdhsa_exception_fp_ieee_invalid_op 0
		.amdhsa_exception_fp_denorm_src 0
		.amdhsa_exception_fp_ieee_div_zero 0
		.amdhsa_exception_fp_ieee_overflow 0
		.amdhsa_exception_fp_ieee_underflow 0
		.amdhsa_exception_fp_ieee_inexact 0
		.amdhsa_exception_int_div_zero 0
	.end_amdhsa_kernel
	.section	.text._ZN9rocsparseL22gebsrmvn_mxn_16_kernelILj52ELj13ELj4E21rocsparse_complex_numIdEEEvi20rocsparse_direction_NS_24const_host_device_scalarIT2_EEPKiS8_PKS5_iiSA_S6_PS5_21rocsparse_index_base_b,"axG",@progbits,_ZN9rocsparseL22gebsrmvn_mxn_16_kernelILj52ELj13ELj4E21rocsparse_complex_numIdEEEvi20rocsparse_direction_NS_24const_host_device_scalarIT2_EEPKiS8_PKS5_iiSA_S6_PS5_21rocsparse_index_base_b,comdat
.Lfunc_end105:
	.size	_ZN9rocsparseL22gebsrmvn_mxn_16_kernelILj52ELj13ELj4E21rocsparse_complex_numIdEEEvi20rocsparse_direction_NS_24const_host_device_scalarIT2_EEPKiS8_PKS5_iiSA_S6_PS5_21rocsparse_index_base_b, .Lfunc_end105-_ZN9rocsparseL22gebsrmvn_mxn_16_kernelILj52ELj13ELj4E21rocsparse_complex_numIdEEEvi20rocsparse_direction_NS_24const_host_device_scalarIT2_EEPKiS8_PKS5_iiSA_S6_PS5_21rocsparse_index_base_b
                                        ; -- End function
	.section	.AMDGPU.csdata,"",@progbits
; Kernel info:
; codeLenInByte = 1496
; NumSgprs: 20
; NumVgprs: 28
; ScratchSize: 0
; MemoryBound: 0
; FloatMode: 240
; IeeeMode: 1
; LDSByteSize: 1664 bytes/workgroup (compile time only)
; SGPRBlocks: 2
; VGPRBlocks: 3
; NumSGPRsForWavesPerEU: 20
; NumVGPRsForWavesPerEU: 28
; Occupancy: 16
; WaveLimiterHint : 1
; COMPUTE_PGM_RSRC2:SCRATCH_EN: 0
; COMPUTE_PGM_RSRC2:USER_SGPR: 15
; COMPUTE_PGM_RSRC2:TRAP_HANDLER: 0
; COMPUTE_PGM_RSRC2:TGID_X_EN: 1
; COMPUTE_PGM_RSRC2:TGID_Y_EN: 0
; COMPUTE_PGM_RSRC2:TGID_Z_EN: 0
; COMPUTE_PGM_RSRC2:TIDIG_COMP_CNT: 2
	.section	.text._ZN9rocsparseL22gebsrmvn_mxn_16_kernelILj65ELj13ELj5E21rocsparse_complex_numIdEEEvi20rocsparse_direction_NS_24const_host_device_scalarIT2_EEPKiS8_PKS5_iiSA_S6_PS5_21rocsparse_index_base_b,"axG",@progbits,_ZN9rocsparseL22gebsrmvn_mxn_16_kernelILj65ELj13ELj5E21rocsparse_complex_numIdEEEvi20rocsparse_direction_NS_24const_host_device_scalarIT2_EEPKiS8_PKS5_iiSA_S6_PS5_21rocsparse_index_base_b,comdat
	.globl	_ZN9rocsparseL22gebsrmvn_mxn_16_kernelILj65ELj13ELj5E21rocsparse_complex_numIdEEEvi20rocsparse_direction_NS_24const_host_device_scalarIT2_EEPKiS8_PKS5_iiSA_S6_PS5_21rocsparse_index_base_b ; -- Begin function _ZN9rocsparseL22gebsrmvn_mxn_16_kernelILj65ELj13ELj5E21rocsparse_complex_numIdEEEvi20rocsparse_direction_NS_24const_host_device_scalarIT2_EEPKiS8_PKS5_iiSA_S6_PS5_21rocsparse_index_base_b
	.p2align	8
	.type	_ZN9rocsparseL22gebsrmvn_mxn_16_kernelILj65ELj13ELj5E21rocsparse_complex_numIdEEEvi20rocsparse_direction_NS_24const_host_device_scalarIT2_EEPKiS8_PKS5_iiSA_S6_PS5_21rocsparse_index_base_b,@function
_ZN9rocsparseL22gebsrmvn_mxn_16_kernelILj65ELj13ELj5E21rocsparse_complex_numIdEEEvi20rocsparse_direction_NS_24const_host_device_scalarIT2_EEPKiS8_PKS5_iiSA_S6_PS5_21rocsparse_index_base_b: ; @_ZN9rocsparseL22gebsrmvn_mxn_16_kernelILj65ELj13ELj5E21rocsparse_complex_numIdEEEvi20rocsparse_direction_NS_24const_host_device_scalarIT2_EEPKiS8_PKS5_iiSA_S6_PS5_21rocsparse_index_base_b
; %bb.0:
	s_mov_b32 s12, s15
	s_load_b64 s[14:15], s[2:3], 0x58
	s_load_b64 s[16:17], s[0:1], 0x4
	s_load_b128 s[8:11], s[2:3], 0x8
	v_bfe_u32 v1, v0, 10, 10
	s_mov_b64 s[0:1], src_shared_base
	s_load_b128 s[4:7], s[2:3], 0x40
	v_and_b32_e32 v8, 0x3ff, v0
	v_bfe_u32 v0, v0, 20, 10
	s_waitcnt lgkmcnt(0)
	s_bitcmp1_b32 s15, 0
	v_mul_u32_u24_e32 v1, s17, v1
	s_cselect_b32 s0, -1, 0
	v_mov_b32_e32 v16, s11
	s_and_b32 vcc_lo, s0, exec_lo
	s_cselect_b32 s13, s1, s9
	s_lshr_b32 s15, s16, 16
	v_dual_mov_b32 v2, s4 :: v_dual_mov_b32 v15, s10
	s_mul_i32 s15, s15, s17
	s_xor_b32 s10, s0, -1
	v_mad_u32_u24 v1, s15, v8, v1
	v_mov_b32_e32 v5, s13
	v_mov_b32_e32 v3, s5
	s_delay_alu instid0(VALU_DEP_3) | instskip(SKIP_1) | instid1(VALU_DEP_2)
	v_add_lshl_u32 v6, v1, v0, 3
	v_dual_mov_b32 v0, s8 :: v_dual_mov_b32 v1, s9
	v_add_nc_u32_e32 v4, 0x618, v6
	ds_store_2addr_b64 v6, v[2:3], v[0:1] offset0:130 offset1:195
	v_add_nc_u32_e32 v0, 0x410, v6
	v_cndmask_b32_e64 v4, s8, v4, s0
	flat_load_b64 v[13:14], v[4:5]
	s_cbranch_vccnz .LBB106_2
; %bb.1:
	v_dual_mov_b32 v1, s8 :: v_dual_mov_b32 v2, s9
	flat_load_b64 v[15:16], v[1:2] offset:8
.LBB106_2:
	s_and_b32 s8, s0, exec_lo
	s_cselect_b32 s1, s1, s5
	v_cndmask_b32_e64 v0, s4, v0, s0
	v_dual_mov_b32 v1, s1 :: v_dual_mov_b32 v12, s7
	v_mov_b32_e32 v11, s6
	s_and_not1_b32 vcc_lo, exec_lo, s10
	flat_load_b64 v[9:10], v[0:1]
	s_cbranch_vccnz .LBB106_4
; %bb.3:
	v_dual_mov_b32 v0, s4 :: v_dual_mov_b32 v1, s5
	flat_load_b64 v[11:12], v[0:1] offset:8
.LBB106_4:
	s_waitcnt vmcnt(1) lgkmcnt(1)
	v_cmp_eq_f64_e32 vcc_lo, 0, v[13:14]
	v_cmp_eq_f64_e64 s0, 0, v[15:16]
	s_delay_alu instid0(VALU_DEP_1)
	s_and_b32 s4, vcc_lo, s0
	s_mov_b32 s0, -1
	s_and_saveexec_b32 s1, s4
	s_cbranch_execz .LBB106_6
; %bb.5:
	s_waitcnt vmcnt(0) lgkmcnt(0)
	v_cmp_neq_f64_e32 vcc_lo, 1.0, v[9:10]
	v_cmp_neq_f64_e64 s0, 0, v[11:12]
	s_delay_alu instid0(VALU_DEP_1) | instskip(NEXT) | instid1(SALU_CYCLE_1)
	s_or_b32 s0, vcc_lo, s0
	s_or_not1_b32 s0, s0, exec_lo
.LBB106_6:
	s_or_b32 exec_lo, exec_lo, s1
	s_and_saveexec_b32 s1, s0
	s_cbranch_execz .LBB106_39
; %bb.7:
	v_mul_u32_u24_e32 v0, 0x3334, v8
	s_clause 0x1
	s_load_b32 s4, s[2:3], 0x4
	s_load_b64 s[0:1], s[2:3], 0x18
	s_delay_alu instid0(VALU_DEP_1) | instskip(NEXT) | instid1(VALU_DEP_1)
	v_lshrrev_b32_e32 v0, 16, v0
	v_mul_lo_u16 v0, v0, 5
	s_delay_alu instid0(VALU_DEP_1) | instskip(NEXT) | instid1(VALU_DEP_1)
	v_sub_nc_u16 v0, v8, v0
	v_and_b32_e32 v7, 0xffff, v0
	s_waitcnt lgkmcnt(0)
	s_cmp_lg_u32 s4, 1
	v_and_b32_e32 v5, 0xffff, v8
	s_cselect_b32 s15, -1, 0
	v_mov_b32_e32 v4, v7
	s_and_b32 vcc_lo, exec_lo, s15
	s_cbranch_vccnz .LBB106_9
; %bb.8:
	v_mul_u32_u24_e32 v0, 0x13b2, v5
	s_delay_alu instid0(VALU_DEP_1) | instskip(NEXT) | instid1(VALU_DEP_1)
	v_lshrrev_b32_e32 v0, 16, v0
	v_mul_lo_u16 v1, v0, 52
	s_delay_alu instid0(VALU_DEP_1) | instskip(NEXT) | instid1(VALU_DEP_1)
	v_lshrrev_b16 v1, 8, v1
	v_mul_lo_u16 v1, v1, 5
	s_delay_alu instid0(VALU_DEP_1) | instskip(NEXT) | instid1(VALU_DEP_1)
	v_sub_nc_u16 v0, v0, v1
	v_and_b32_e32 v4, 0xff, v0
.LBB106_9:
	s_ashr_i32 s13, s12, 31
	v_mov_b32_e32 v2, 0
	s_lshl_b64 s[4:5], s[12:13], 2
	v_mov_b32_e32 v3, 0
	s_add_u32 s0, s0, s4
	s_addc_u32 s1, s1, s5
	v_mov_b32_e32 v0, v2
	s_load_b64 s[10:11], s[0:1], 0x0
	s_load_b64 s[8:9], s[2:3], 0x50
	v_mov_b32_e32 v1, v3
	s_waitcnt lgkmcnt(0)
	s_cmp_ge_i32 s10, s11
	s_cbranch_scc1 .LBB106_14
; %bb.10:
	s_clause 0x1
	s_load_b128 s[4:7], s[2:3], 0x20
	s_load_b64 s[0:1], s[2:3], 0x38
	s_waitcnt vmcnt(0)
	v_mad_u64_u32 v[0:1], null, 0x41, s10, v[8:9]
	v_mov_b32_e32 v2, 0
	v_mul_u32_u24_e32 v1, 0x3f1, v5
	v_dual_mov_b32 v3, 0 :: v_dual_mov_b32 v6, 0
	s_mul_i32 s2, s14, 0x41
	s_sub_i32 s3, s10, s14
	s_delay_alu instid0(VALU_DEP_2)
	v_lshrrev_b32_e32 v19, 16, v1
	v_subrev_nc_u32_e32 v5, s2, v0
	v_dual_mov_b32 v0, v2 :: v_dual_mov_b32 v1, v3
	s_sub_i32 s2, s11, s14
	s_set_inst_prefetch_distance 0x1
	s_branch .LBB106_12
	.p2align	6
.LBB106_11:                             ;   in Loop: Header=BB106_12 Depth=1
	s_or_b32 exec_lo, exec_lo, s10
	v_add_nc_u32_e32 v5, 0x41, v5
	s_add_i32 s3, s3, 1
	s_delay_alu instid0(SALU_CYCLE_1)
	s_cmp_ge_i32 s3, s2
	s_cbranch_scc1 .LBB106_14
.LBB106_12:                             ; =>This Inner Loop Header: Depth=1
	v_add_nc_u32_e32 v17, s3, v19
	s_mov_b32 s10, exec_lo
	s_delay_alu instid0(VALU_DEP_1)
	v_cmpx_gt_i32_e64 s2, v17
	s_cbranch_execz .LBB106_11
; %bb.13:                               ;   in Loop: Header=BB106_12 Depth=1
	v_ashrrev_i32_e32 v18, 31, v17
	s_delay_alu instid0(VALU_DEP_1) | instskip(SKIP_1) | instid1(VALU_DEP_1)
	v_lshlrev_b64 v[17:18], 2, v[17:18]
	s_waitcnt lgkmcnt(0)
	v_add_co_u32 v17, vcc_lo, s4, v17
	s_delay_alu instid0(VALU_DEP_2) | instskip(SKIP_3) | instid1(VALU_DEP_1)
	v_add_co_ci_u32_e32 v18, vcc_lo, s5, v18, vcc_lo
	global_load_b32 v17, v[17:18], off
	s_waitcnt vmcnt(0)
	v_subrev_nc_u32_e32 v20, s14, v17
	v_mad_u64_u32 v[17:18], null, v20, 5, v[4:5]
	v_lshlrev_b64 v[20:21], 4, v[5:6]
	s_delay_alu instid0(VALU_DEP_1) | instskip(NEXT) | instid1(VALU_DEP_3)
	v_add_co_u32 v20, vcc_lo, s6, v20
	v_ashrrev_i32_e32 v18, 31, v17
	s_delay_alu instid0(VALU_DEP_3) | instskip(NEXT) | instid1(VALU_DEP_2)
	v_add_co_ci_u32_e32 v21, vcc_lo, s7, v21, vcc_lo
	v_lshlrev_b64 v[17:18], 4, v[17:18]
	s_delay_alu instid0(VALU_DEP_1) | instskip(NEXT) | instid1(VALU_DEP_2)
	v_add_co_u32 v17, vcc_lo, s0, v17
	v_add_co_ci_u32_e32 v18, vcc_lo, s1, v18, vcc_lo
	global_load_b128 v[20:23], v[20:21], off
	global_load_b128 v[24:27], v[17:18], off
	s_waitcnt vmcnt(0)
	v_fma_f64 v[0:1], v[20:21], v[24:25], v[0:1]
	v_fma_f64 v[2:3], v[22:23], v[24:25], v[2:3]
	s_delay_alu instid0(VALU_DEP_2) | instskip(NEXT) | instid1(VALU_DEP_2)
	v_fma_f64 v[0:1], -v[22:23], v[26:27], v[0:1]
	v_fma_f64 v[2:3], v[20:21], v[26:27], v[2:3]
	s_branch .LBB106_11
.LBB106_14:
	s_set_inst_prefetch_distance 0x2
	v_lshlrev_b32_e32 v17, 4, v8
	s_and_b32 vcc_lo, exec_lo, s15
	ds_store_b128 v17, v[0:3]
	s_waitcnt vmcnt(0) lgkmcnt(0)
	s_barrier
	buffer_gl0_inv
	s_cbranch_vccz .LBB106_24
; %bb.15:
	v_cmp_eq_u16_e32 vcc_lo, 0, v7
	s_and_saveexec_b32 s0, vcc_lo
	s_cbranch_execz .LBB106_17
; %bb.16:
	ds_load_b128 v[18:21], v17 offset:64
	ds_load_b128 v[22:25], v17
	s_waitcnt lgkmcnt(0)
	v_add_f64 v[18:19], v[18:19], v[22:23]
	v_add_f64 v[20:21], v[20:21], v[24:25]
	ds_store_b128 v17, v[18:21]
.LBB106_17:
	s_or_b32 exec_lo, exec_lo, s0
	s_delay_alu instid0(SALU_CYCLE_1)
	s_mov_b32 s1, exec_lo
	s_waitcnt lgkmcnt(0)
	s_barrier
	buffer_gl0_inv
	v_cmpx_gt_u16_e32 2, v7
	s_cbranch_execz .LBB106_19
; %bb.18:
	ds_load_b128 v[4:7], v17
	ds_load_b128 v[18:21], v17 offset:32
	s_waitcnt lgkmcnt(0)
	v_add_f64 v[4:5], v[18:19], v[4:5]
	v_add_f64 v[6:7], v[20:21], v[6:7]
	ds_store_b128 v17, v[4:7]
.LBB106_19:
	s_or_b32 exec_lo, exec_lo, s1
	s_waitcnt lgkmcnt(0)
	s_barrier
	buffer_gl0_inv
	s_and_saveexec_b32 s0, vcc_lo
	s_cbranch_execz .LBB106_21
; %bb.20:
	ds_load_b128 v[4:7], v17
	ds_load_b128 v[18:21], v17 offset:16
	s_waitcnt lgkmcnt(0)
	v_add_f64 v[4:5], v[18:19], v[4:5]
	v_add_f64 v[6:7], v[20:21], v[6:7]
	ds_store_b128 v17, v[4:7]
.LBB106_21:
	s_or_b32 exec_lo, exec_lo, s0
	v_dual_mov_b32 v7, v3 :: v_dual_mov_b32 v6, v2
	v_dual_mov_b32 v5, v1 :: v_dual_mov_b32 v4, v0
	s_mov_b32 s0, exec_lo
	s_waitcnt lgkmcnt(0)
	s_barrier
	buffer_gl0_inv
	v_cmpx_gt_u32_e32 13, v8
	s_cbranch_execz .LBB106_23
; %bb.22:
	v_lshl_add_u32 v4, v8, 6, v17
	ds_load_b128 v[4:7], v4
.LBB106_23:
	s_or_b32 exec_lo, exec_lo, s0
	v_cmp_gt_u32_e64 s0, 13, v8
	s_branch .LBB106_34
.LBB106_24:
                                        ; implicit-def: $vgpr6_vgpr7
	v_cmp_gt_u32_e64 s0, 13, v8
	s_cbranch_execz .LBB106_34
; %bb.25:
	v_cmp_lt_u32_e32 vcc_lo, 12, v8
	s_delay_alu instid0(VALU_DEP_2)
	s_and_saveexec_b32 s1, s0
	s_cbranch_execz .LBB106_27
; %bb.26:
	s_waitcnt lgkmcnt(0)
	ds_load_b128 v[4:7], v17 offset:832
	ds_load_b128 v[18:21], v17
	s_waitcnt lgkmcnt(0)
	v_add_f64 v[4:5], v[4:5], v[18:19]
	v_add_f64 v[6:7], v[6:7], v[20:21]
	ds_store_b128 v17, v[4:7]
.LBB106_27:
	s_or_b32 exec_lo, exec_lo, s1
	s_delay_alu instid0(SALU_CYCLE_1)
	s_mov_b32 s1, exec_lo
	s_waitcnt lgkmcnt(0)
	s_barrier
	buffer_gl0_inv
	v_cmpx_gt_u32_e32 26, v8
	s_cbranch_execz .LBB106_29
; %bb.28:
	ds_load_b128 v[4:7], v17 offset:416
	ds_load_b128 v[18:21], v17
	s_waitcnt lgkmcnt(0)
	v_add_f64 v[4:5], v[4:5], v[18:19]
	v_add_f64 v[6:7], v[6:7], v[20:21]
	ds_store_b128 v17, v[4:7]
.LBB106_29:
	s_or_b32 exec_lo, exec_lo, s1
	s_waitcnt lgkmcnt(0)
	buffer_gl0_inv
	s_and_saveexec_b32 s0, vcc_lo
	s_delay_alu instid0(SALU_CYCLE_1)
	s_xor_b32 s0, exec_lo, s0
	s_cbranch_execz .LBB106_31
; %bb.30:
	buffer_gl0_inv
                                        ; implicit-def: $vgpr17
.LBB106_31:
	s_and_not1_saveexec_b32 s0, s0
	s_cbranch_execz .LBB106_33
; %bb.32:
	ds_load_b128 v[0:3], v17 offset:208
	ds_load_b128 v[4:7], v17
	s_waitcnt lgkmcnt(0)
	v_add_f64 v[0:1], v[0:1], v[4:5]
	v_add_f64 v[2:3], v[2:3], v[6:7]
	ds_store_b128 v17, v[0:3]
	s_waitcnt lgkmcnt(0)
	buffer_gl0_inv
	ds_load_b128 v[0:3], v17
.LBB106_33:
	s_or_b32 exec_lo, exec_lo, s0
	s_waitcnt lgkmcnt(0)
	v_dual_mov_b32 v7, v3 :: v_dual_mov_b32 v6, v2
	v_dual_mov_b32 v5, v1 :: v_dual_mov_b32 v4, v0
.LBB106_34:
	v_cmp_gt_u32_e32 vcc_lo, 13, v8
	s_and_b32 exec_lo, exec_lo, vcc_lo
	s_cbranch_execz .LBB106_39
; %bb.35:
	s_waitcnt lgkmcnt(0)
	v_mul_f64 v[0:1], v[6:7], -v[15:16]
	v_mul_f64 v[2:3], v[13:14], v[6:7]
	v_cmp_eq_f64_e32 vcc_lo, 0, v[9:10]
	v_cmp_eq_f64_e64 s0, 0, v[11:12]
	s_delay_alu instid0(VALU_DEP_4) | instskip(NEXT) | instid1(VALU_DEP_4)
	v_fma_f64 v[0:1], v[13:14], v[4:5], v[0:1]
	v_fma_f64 v[2:3], v[15:16], v[4:5], v[2:3]
	s_delay_alu instid0(VALU_DEP_3) | instskip(NEXT) | instid1(SALU_CYCLE_1)
	s_and_b32 s0, vcc_lo, s0
	s_and_saveexec_b32 s1, s0
	s_delay_alu instid0(SALU_CYCLE_1)
	s_xor_b32 s0, exec_lo, s1
	s_cbranch_execz .LBB106_37
; %bb.36:
	v_mad_u64_u32 v[4:5], null, s12, 13, v[8:9]
	v_mov_b32_e32 v5, 0
                                        ; implicit-def: $vgpr8
                                        ; implicit-def: $vgpr9_vgpr10
                                        ; implicit-def: $vgpr11_vgpr12
	s_delay_alu instid0(VALU_DEP_1) | instskip(NEXT) | instid1(VALU_DEP_1)
	v_lshlrev_b64 v[4:5], 4, v[4:5]
	v_add_co_u32 v4, vcc_lo, s8, v4
	s_delay_alu instid0(VALU_DEP_2)
	v_add_co_ci_u32_e32 v5, vcc_lo, s9, v5, vcc_lo
	global_store_b128 v[4:5], v[0:3], off
                                        ; implicit-def: $vgpr0_vgpr1
.LBB106_37:
	s_and_not1_saveexec_b32 s0, s0
	s_cbranch_execz .LBB106_39
; %bb.38:
	v_mad_u64_u32 v[4:5], null, s12, 13, v[8:9]
	v_mov_b32_e32 v5, 0
	s_delay_alu instid0(VALU_DEP_1) | instskip(NEXT) | instid1(VALU_DEP_1)
	v_lshlrev_b64 v[4:5], 4, v[4:5]
	v_add_co_u32 v13, vcc_lo, s8, v4
	s_delay_alu instid0(VALU_DEP_2) | instskip(SKIP_4) | instid1(VALU_DEP_2)
	v_add_co_ci_u32_e32 v14, vcc_lo, s9, v5, vcc_lo
	global_load_b128 v[4:7], v[13:14], off
	s_waitcnt vmcnt(0)
	v_fma_f64 v[0:1], v[9:10], v[4:5], v[0:1]
	v_fma_f64 v[2:3], v[11:12], v[4:5], v[2:3]
	v_fma_f64 v[0:1], -v[11:12], v[6:7], v[0:1]
	s_delay_alu instid0(VALU_DEP_2)
	v_fma_f64 v[2:3], v[9:10], v[6:7], v[2:3]
	global_store_b128 v[13:14], v[0:3], off
.LBB106_39:
	s_nop 0
	s_sendmsg sendmsg(MSG_DEALLOC_VGPRS)
	s_endpgm
	.section	.rodata,"a",@progbits
	.p2align	6, 0x0
	.amdhsa_kernel _ZN9rocsparseL22gebsrmvn_mxn_16_kernelILj65ELj13ELj5E21rocsparse_complex_numIdEEEvi20rocsparse_direction_NS_24const_host_device_scalarIT2_EEPKiS8_PKS5_iiSA_S6_PS5_21rocsparse_index_base_b
		.amdhsa_group_segment_fixed_size 2080
		.amdhsa_private_segment_fixed_size 0
		.amdhsa_kernarg_size 96
		.amdhsa_user_sgpr_count 15
		.amdhsa_user_sgpr_dispatch_ptr 1
		.amdhsa_user_sgpr_queue_ptr 0
		.amdhsa_user_sgpr_kernarg_segment_ptr 1
		.amdhsa_user_sgpr_dispatch_id 0
		.amdhsa_user_sgpr_private_segment_size 0
		.amdhsa_wavefront_size32 1
		.amdhsa_uses_dynamic_stack 0
		.amdhsa_enable_private_segment 0
		.amdhsa_system_sgpr_workgroup_id_x 1
		.amdhsa_system_sgpr_workgroup_id_y 0
		.amdhsa_system_sgpr_workgroup_id_z 0
		.amdhsa_system_sgpr_workgroup_info 0
		.amdhsa_system_vgpr_workitem_id 2
		.amdhsa_next_free_vgpr 28
		.amdhsa_next_free_sgpr 18
		.amdhsa_reserve_vcc 1
		.amdhsa_float_round_mode_32 0
		.amdhsa_float_round_mode_16_64 0
		.amdhsa_float_denorm_mode_32 3
		.amdhsa_float_denorm_mode_16_64 3
		.amdhsa_dx10_clamp 1
		.amdhsa_ieee_mode 1
		.amdhsa_fp16_overflow 0
		.amdhsa_workgroup_processor_mode 1
		.amdhsa_memory_ordered 1
		.amdhsa_forward_progress 0
		.amdhsa_shared_vgpr_count 0
		.amdhsa_exception_fp_ieee_invalid_op 0
		.amdhsa_exception_fp_denorm_src 0
		.amdhsa_exception_fp_ieee_div_zero 0
		.amdhsa_exception_fp_ieee_overflow 0
		.amdhsa_exception_fp_ieee_underflow 0
		.amdhsa_exception_fp_ieee_inexact 0
		.amdhsa_exception_int_div_zero 0
	.end_amdhsa_kernel
	.section	.text._ZN9rocsparseL22gebsrmvn_mxn_16_kernelILj65ELj13ELj5E21rocsparse_complex_numIdEEEvi20rocsparse_direction_NS_24const_host_device_scalarIT2_EEPKiS8_PKS5_iiSA_S6_PS5_21rocsparse_index_base_b,"axG",@progbits,_ZN9rocsparseL22gebsrmvn_mxn_16_kernelILj65ELj13ELj5E21rocsparse_complex_numIdEEEvi20rocsparse_direction_NS_24const_host_device_scalarIT2_EEPKiS8_PKS5_iiSA_S6_PS5_21rocsparse_index_base_b,comdat
.Lfunc_end106:
	.size	_ZN9rocsparseL22gebsrmvn_mxn_16_kernelILj65ELj13ELj5E21rocsparse_complex_numIdEEEvi20rocsparse_direction_NS_24const_host_device_scalarIT2_EEPKiS8_PKS5_iiSA_S6_PS5_21rocsparse_index_base_b, .Lfunc_end106-_ZN9rocsparseL22gebsrmvn_mxn_16_kernelILj65ELj13ELj5E21rocsparse_complex_numIdEEEvi20rocsparse_direction_NS_24const_host_device_scalarIT2_EEPKiS8_PKS5_iiSA_S6_PS5_21rocsparse_index_base_b
                                        ; -- End function
	.section	.AMDGPU.csdata,"",@progbits
; Kernel info:
; codeLenInByte = 1764
; NumSgprs: 20
; NumVgprs: 28
; ScratchSize: 0
; MemoryBound: 0
; FloatMode: 240
; IeeeMode: 1
; LDSByteSize: 2080 bytes/workgroup (compile time only)
; SGPRBlocks: 2
; VGPRBlocks: 3
; NumSGPRsForWavesPerEU: 20
; NumVGPRsForWavesPerEU: 28
; Occupancy: 16
; WaveLimiterHint : 1
; COMPUTE_PGM_RSRC2:SCRATCH_EN: 0
; COMPUTE_PGM_RSRC2:USER_SGPR: 15
; COMPUTE_PGM_RSRC2:TRAP_HANDLER: 0
; COMPUTE_PGM_RSRC2:TGID_X_EN: 1
; COMPUTE_PGM_RSRC2:TGID_Y_EN: 0
; COMPUTE_PGM_RSRC2:TGID_Z_EN: 0
; COMPUTE_PGM_RSRC2:TIDIG_COMP_CNT: 2
	.section	.text._ZN9rocsparseL22gebsrmvn_mxn_16_kernelILj78ELj13ELj6E21rocsparse_complex_numIdEEEvi20rocsparse_direction_NS_24const_host_device_scalarIT2_EEPKiS8_PKS5_iiSA_S6_PS5_21rocsparse_index_base_b,"axG",@progbits,_ZN9rocsparseL22gebsrmvn_mxn_16_kernelILj78ELj13ELj6E21rocsparse_complex_numIdEEEvi20rocsparse_direction_NS_24const_host_device_scalarIT2_EEPKiS8_PKS5_iiSA_S6_PS5_21rocsparse_index_base_b,comdat
	.globl	_ZN9rocsparseL22gebsrmvn_mxn_16_kernelILj78ELj13ELj6E21rocsparse_complex_numIdEEEvi20rocsparse_direction_NS_24const_host_device_scalarIT2_EEPKiS8_PKS5_iiSA_S6_PS5_21rocsparse_index_base_b ; -- Begin function _ZN9rocsparseL22gebsrmvn_mxn_16_kernelILj78ELj13ELj6E21rocsparse_complex_numIdEEEvi20rocsparse_direction_NS_24const_host_device_scalarIT2_EEPKiS8_PKS5_iiSA_S6_PS5_21rocsparse_index_base_b
	.p2align	8
	.type	_ZN9rocsparseL22gebsrmvn_mxn_16_kernelILj78ELj13ELj6E21rocsparse_complex_numIdEEEvi20rocsparse_direction_NS_24const_host_device_scalarIT2_EEPKiS8_PKS5_iiSA_S6_PS5_21rocsparse_index_base_b,@function
_ZN9rocsparseL22gebsrmvn_mxn_16_kernelILj78ELj13ELj6E21rocsparse_complex_numIdEEEvi20rocsparse_direction_NS_24const_host_device_scalarIT2_EEPKiS8_PKS5_iiSA_S6_PS5_21rocsparse_index_base_b: ; @_ZN9rocsparseL22gebsrmvn_mxn_16_kernelILj78ELj13ELj6E21rocsparse_complex_numIdEEEvi20rocsparse_direction_NS_24const_host_device_scalarIT2_EEPKiS8_PKS5_iiSA_S6_PS5_21rocsparse_index_base_b
; %bb.0:
	s_mov_b32 s12, s15
	s_load_b64 s[14:15], s[2:3], 0x58
	s_load_b64 s[16:17], s[0:1], 0x4
	s_load_b128 s[8:11], s[2:3], 0x8
	v_bfe_u32 v1, v0, 10, 10
	s_mov_b64 s[0:1], src_shared_base
	s_load_b128 s[4:7], s[2:3], 0x40
	v_and_b32_e32 v8, 0x3ff, v0
	v_bfe_u32 v0, v0, 20, 10
	s_waitcnt lgkmcnt(0)
	s_bitcmp1_b32 s15, 0
	v_mul_u32_u24_e32 v1, s17, v1
	s_cselect_b32 s0, -1, 0
	v_mov_b32_e32 v16, s11
	s_and_b32 vcc_lo, s0, exec_lo
	s_cselect_b32 s13, s1, s9
	s_lshr_b32 s15, s16, 16
	v_dual_mov_b32 v2, s4 :: v_dual_mov_b32 v15, s10
	s_mul_i32 s15, s15, s17
	s_xor_b32 s10, s0, -1
	v_mad_u32_u24 v1, s15, v8, v1
	v_mov_b32_e32 v5, s13
	v_mov_b32_e32 v3, s5
	s_delay_alu instid0(VALU_DEP_3) | instskip(SKIP_1) | instid1(VALU_DEP_2)
	v_add_lshl_u32 v6, v1, v0, 3
	v_dual_mov_b32 v0, s8 :: v_dual_mov_b32 v1, s9
	v_add_nc_u32_e32 v4, 0x750, v6
	ds_store_2addr_b64 v6, v[2:3], v[0:1] offset0:156 offset1:234
	v_add_nc_u32_e32 v0, 0x4e0, v6
	v_cndmask_b32_e64 v4, s8, v4, s0
	flat_load_b64 v[13:14], v[4:5]
	s_cbranch_vccnz .LBB107_2
; %bb.1:
	v_dual_mov_b32 v1, s8 :: v_dual_mov_b32 v2, s9
	flat_load_b64 v[15:16], v[1:2] offset:8
.LBB107_2:
	s_and_b32 s8, s0, exec_lo
	s_cselect_b32 s1, s1, s5
	v_cndmask_b32_e64 v0, s4, v0, s0
	v_dual_mov_b32 v1, s1 :: v_dual_mov_b32 v12, s7
	v_mov_b32_e32 v11, s6
	s_and_not1_b32 vcc_lo, exec_lo, s10
	flat_load_b64 v[9:10], v[0:1]
	s_cbranch_vccnz .LBB107_4
; %bb.3:
	v_dual_mov_b32 v0, s4 :: v_dual_mov_b32 v1, s5
	flat_load_b64 v[11:12], v[0:1] offset:8
.LBB107_4:
	s_waitcnt vmcnt(1) lgkmcnt(1)
	v_cmp_eq_f64_e32 vcc_lo, 0, v[13:14]
	v_cmp_eq_f64_e64 s0, 0, v[15:16]
	s_delay_alu instid0(VALU_DEP_1)
	s_and_b32 s4, vcc_lo, s0
	s_mov_b32 s0, -1
	s_and_saveexec_b32 s1, s4
	s_cbranch_execz .LBB107_6
; %bb.5:
	s_waitcnt vmcnt(0) lgkmcnt(0)
	v_cmp_neq_f64_e32 vcc_lo, 1.0, v[9:10]
	v_cmp_neq_f64_e64 s0, 0, v[11:12]
	s_delay_alu instid0(VALU_DEP_1) | instskip(NEXT) | instid1(SALU_CYCLE_1)
	s_or_b32 s0, vcc_lo, s0
	s_or_not1_b32 s0, s0, exec_lo
.LBB107_6:
	s_or_b32 exec_lo, exec_lo, s1
	s_and_saveexec_b32 s1, s0
	s_cbranch_execz .LBB107_39
; %bb.7:
	v_mul_u32_u24_e32 v0, 0x2aab, v8
	s_clause 0x1
	s_load_b32 s4, s[2:3], 0x4
	s_load_b64 s[0:1], s[2:3], 0x18
	s_delay_alu instid0(VALU_DEP_1) | instskip(NEXT) | instid1(VALU_DEP_1)
	v_lshrrev_b32_e32 v0, 16, v0
	v_mul_lo_u16 v0, v0, 6
	s_delay_alu instid0(VALU_DEP_1) | instskip(NEXT) | instid1(VALU_DEP_1)
	v_sub_nc_u16 v0, v8, v0
	v_and_b32_e32 v7, 0xffff, v0
	s_waitcnt lgkmcnt(0)
	s_cmp_lg_u32 s4, 1
	v_and_b32_e32 v5, 0xffff, v8
	s_cselect_b32 s15, -1, 0
	v_mov_b32_e32 v4, v7
	s_and_b32 vcc_lo, exec_lo, s15
	s_cbranch_vccnz .LBB107_9
; %bb.8:
	v_mul_u32_u24_e32 v0, 0x13b2, v5
	s_delay_alu instid0(VALU_DEP_1) | instskip(NEXT) | instid1(VALU_DEP_1)
	v_lshrrev_b32_e32 v0, 16, v0
	v_mul_lo_u16 v1, v0, 43
	s_delay_alu instid0(VALU_DEP_1) | instskip(NEXT) | instid1(VALU_DEP_1)
	v_lshrrev_b16 v1, 8, v1
	v_mul_lo_u16 v1, v1, 6
	s_delay_alu instid0(VALU_DEP_1) | instskip(NEXT) | instid1(VALU_DEP_1)
	v_sub_nc_u16 v0, v0, v1
	v_and_b32_e32 v4, 0xff, v0
.LBB107_9:
	s_ashr_i32 s13, s12, 31
	v_mov_b32_e32 v2, 0
	s_lshl_b64 s[4:5], s[12:13], 2
	v_mov_b32_e32 v3, 0
	s_add_u32 s0, s0, s4
	s_addc_u32 s1, s1, s5
	v_mov_b32_e32 v0, v2
	s_load_b64 s[10:11], s[0:1], 0x0
	s_load_b64 s[8:9], s[2:3], 0x50
	v_mov_b32_e32 v1, v3
	s_waitcnt lgkmcnt(0)
	s_cmp_ge_i32 s10, s11
	s_cbranch_scc1 .LBB107_14
; %bb.10:
	s_clause 0x1
	s_load_b128 s[4:7], s[2:3], 0x20
	s_load_b64 s[0:1], s[2:3], 0x38
	s_waitcnt vmcnt(0)
	v_mad_u64_u32 v[0:1], null, 0x4e, s10, v[8:9]
	v_mov_b32_e32 v2, 0
	v_mul_u32_u24_e32 v1, 0x349, v5
	v_dual_mov_b32 v3, 0 :: v_dual_mov_b32 v6, 0
	s_mul_i32 s2, s14, 0x4e
	s_sub_i32 s3, s10, s14
	s_delay_alu instid0(VALU_DEP_2)
	v_lshrrev_b32_e32 v19, 16, v1
	v_subrev_nc_u32_e32 v5, s2, v0
	v_dual_mov_b32 v0, v2 :: v_dual_mov_b32 v1, v3
	s_sub_i32 s2, s11, s14
	s_set_inst_prefetch_distance 0x1
	s_branch .LBB107_12
	.p2align	6
.LBB107_11:                             ;   in Loop: Header=BB107_12 Depth=1
	s_or_b32 exec_lo, exec_lo, s10
	v_add_nc_u32_e32 v5, 0x4e, v5
	s_add_i32 s3, s3, 1
	s_delay_alu instid0(SALU_CYCLE_1)
	s_cmp_ge_i32 s3, s2
	s_cbranch_scc1 .LBB107_14
.LBB107_12:                             ; =>This Inner Loop Header: Depth=1
	v_add_nc_u32_e32 v17, s3, v19
	s_mov_b32 s10, exec_lo
	s_delay_alu instid0(VALU_DEP_1)
	v_cmpx_gt_i32_e64 s2, v17
	s_cbranch_execz .LBB107_11
; %bb.13:                               ;   in Loop: Header=BB107_12 Depth=1
	v_ashrrev_i32_e32 v18, 31, v17
	s_delay_alu instid0(VALU_DEP_1) | instskip(SKIP_1) | instid1(VALU_DEP_1)
	v_lshlrev_b64 v[17:18], 2, v[17:18]
	s_waitcnt lgkmcnt(0)
	v_add_co_u32 v17, vcc_lo, s4, v17
	s_delay_alu instid0(VALU_DEP_2) | instskip(SKIP_3) | instid1(VALU_DEP_1)
	v_add_co_ci_u32_e32 v18, vcc_lo, s5, v18, vcc_lo
	global_load_b32 v17, v[17:18], off
	s_waitcnt vmcnt(0)
	v_subrev_nc_u32_e32 v20, s14, v17
	v_mad_u64_u32 v[17:18], null, v20, 6, v[4:5]
	v_lshlrev_b64 v[20:21], 4, v[5:6]
	s_delay_alu instid0(VALU_DEP_1) | instskip(NEXT) | instid1(VALU_DEP_3)
	v_add_co_u32 v20, vcc_lo, s6, v20
	v_ashrrev_i32_e32 v18, 31, v17
	s_delay_alu instid0(VALU_DEP_3) | instskip(NEXT) | instid1(VALU_DEP_2)
	v_add_co_ci_u32_e32 v21, vcc_lo, s7, v21, vcc_lo
	v_lshlrev_b64 v[17:18], 4, v[17:18]
	s_delay_alu instid0(VALU_DEP_1) | instskip(NEXT) | instid1(VALU_DEP_2)
	v_add_co_u32 v17, vcc_lo, s0, v17
	v_add_co_ci_u32_e32 v18, vcc_lo, s1, v18, vcc_lo
	global_load_b128 v[20:23], v[20:21], off
	global_load_b128 v[24:27], v[17:18], off
	s_waitcnt vmcnt(0)
	v_fma_f64 v[0:1], v[20:21], v[24:25], v[0:1]
	v_fma_f64 v[2:3], v[22:23], v[24:25], v[2:3]
	s_delay_alu instid0(VALU_DEP_2) | instskip(NEXT) | instid1(VALU_DEP_2)
	v_fma_f64 v[0:1], -v[22:23], v[26:27], v[0:1]
	v_fma_f64 v[2:3], v[20:21], v[26:27], v[2:3]
	s_branch .LBB107_11
.LBB107_14:
	s_set_inst_prefetch_distance 0x2
	v_lshlrev_b32_e32 v17, 4, v8
	s_and_b32 vcc_lo, exec_lo, s15
	ds_store_b128 v17, v[0:3]
	s_waitcnt vmcnt(0) lgkmcnt(0)
	s_barrier
	buffer_gl0_inv
	s_cbranch_vccz .LBB107_24
; %bb.15:
	v_cmp_gt_u16_e32 vcc_lo, 2, v7
	s_and_saveexec_b32 s0, vcc_lo
	s_cbranch_execz .LBB107_17
; %bb.16:
	ds_load_b128 v[18:21], v17 offset:64
	ds_load_b128 v[22:25], v17
	s_waitcnt lgkmcnt(0)
	v_add_f64 v[18:19], v[18:19], v[22:23]
	v_add_f64 v[20:21], v[20:21], v[24:25]
	ds_store_b128 v17, v[18:21]
.LBB107_17:
	s_or_b32 exec_lo, exec_lo, s0
	s_waitcnt lgkmcnt(0)
	s_barrier
	buffer_gl0_inv
	s_and_saveexec_b32 s0, vcc_lo
	s_cbranch_execz .LBB107_19
; %bb.18:
	ds_load_b128 v[18:21], v17
	ds_load_b128 v[22:25], v17 offset:32
	s_waitcnt lgkmcnt(0)
	v_add_f64 v[18:19], v[22:23], v[18:19]
	v_add_f64 v[20:21], v[24:25], v[20:21]
	ds_store_b128 v17, v[18:21]
.LBB107_19:
	s_or_b32 exec_lo, exec_lo, s0
	s_delay_alu instid0(SALU_CYCLE_1)
	s_mov_b32 s0, exec_lo
	s_waitcnt lgkmcnt(0)
	s_barrier
	buffer_gl0_inv
	v_cmpx_eq_u16_e32 0, v7
	s_cbranch_execz .LBB107_21
; %bb.20:
	ds_load_b128 v[4:7], v17
	ds_load_b128 v[18:21], v17 offset:16
	s_waitcnt lgkmcnt(0)
	v_add_f64 v[4:5], v[18:19], v[4:5]
	v_add_f64 v[6:7], v[20:21], v[6:7]
	ds_store_b128 v17, v[4:7]
.LBB107_21:
	s_or_b32 exec_lo, exec_lo, s0
	v_dual_mov_b32 v7, v3 :: v_dual_mov_b32 v6, v2
	v_dual_mov_b32 v5, v1 :: v_dual_mov_b32 v4, v0
	s_mov_b32 s0, exec_lo
	s_waitcnt lgkmcnt(0)
	s_barrier
	buffer_gl0_inv
	v_cmpx_gt_u32_e32 13, v8
	s_cbranch_execz .LBB107_23
; %bb.22:
	v_mad_u32_u24 v4, 0x50, v8, v17
	ds_load_b128 v[4:7], v4
.LBB107_23:
	s_or_b32 exec_lo, exec_lo, s0
	s_branch .LBB107_34
.LBB107_24:
                                        ; implicit-def: $vgpr6_vgpr7
	s_cbranch_execz .LBB107_34
; %bb.25:
	v_cmp_gt_u32_e32 vcc_lo, 26, v8
	s_and_saveexec_b32 s0, vcc_lo
	s_cbranch_execz .LBB107_27
; %bb.26:
	s_waitcnt lgkmcnt(0)
	ds_load_b128 v[4:7], v17 offset:832
	ds_load_b128 v[18:21], v17
	s_waitcnt lgkmcnt(0)
	v_add_f64 v[4:5], v[4:5], v[18:19]
	v_add_f64 v[6:7], v[6:7], v[20:21]
	ds_store_b128 v17, v[4:7]
.LBB107_27:
	s_or_b32 exec_lo, exec_lo, s0
	s_waitcnt lgkmcnt(0)
	s_barrier
	buffer_gl0_inv
	s_and_saveexec_b32 s0, vcc_lo
	s_cbranch_execz .LBB107_29
; %bb.28:
	ds_load_b128 v[4:7], v17 offset:416
	ds_load_b128 v[18:21], v17
	s_waitcnt lgkmcnt(0)
	v_add_f64 v[4:5], v[4:5], v[18:19]
	v_add_f64 v[6:7], v[6:7], v[20:21]
	ds_store_b128 v17, v[4:7]
.LBB107_29:
	s_or_b32 exec_lo, exec_lo, s0
	s_delay_alu instid0(SALU_CYCLE_1)
	s_mov_b32 s0, exec_lo
	s_waitcnt lgkmcnt(0)
	buffer_gl0_inv
	v_cmpx_lt_u32_e32 12, v8
	s_xor_b32 s0, exec_lo, s0
	s_cbranch_execz .LBB107_31
; %bb.30:
	buffer_gl0_inv
                                        ; implicit-def: $vgpr17
.LBB107_31:
	s_and_not1_saveexec_b32 s0, s0
	s_cbranch_execz .LBB107_33
; %bb.32:
	ds_load_b128 v[0:3], v17 offset:208
	ds_load_b128 v[4:7], v17
	s_waitcnt lgkmcnt(0)
	v_add_f64 v[0:1], v[0:1], v[4:5]
	v_add_f64 v[2:3], v[2:3], v[6:7]
	ds_store_b128 v17, v[0:3]
	s_waitcnt lgkmcnt(0)
	buffer_gl0_inv
	ds_load_b128 v[0:3], v17
.LBB107_33:
	s_or_b32 exec_lo, exec_lo, s0
	s_waitcnt lgkmcnt(0)
	v_dual_mov_b32 v7, v3 :: v_dual_mov_b32 v6, v2
	v_dual_mov_b32 v5, v1 :: v_dual_mov_b32 v4, v0
.LBB107_34:
	v_cmp_gt_u32_e32 vcc_lo, 13, v8
	s_and_b32 exec_lo, exec_lo, vcc_lo
	s_cbranch_execz .LBB107_39
; %bb.35:
	s_waitcnt lgkmcnt(0)
	v_mul_f64 v[0:1], v[6:7], -v[15:16]
	v_mul_f64 v[2:3], v[13:14], v[6:7]
	v_cmp_eq_f64_e32 vcc_lo, 0, v[9:10]
	v_cmp_eq_f64_e64 s0, 0, v[11:12]
	s_delay_alu instid0(VALU_DEP_4) | instskip(NEXT) | instid1(VALU_DEP_4)
	v_fma_f64 v[0:1], v[13:14], v[4:5], v[0:1]
	v_fma_f64 v[2:3], v[15:16], v[4:5], v[2:3]
	s_delay_alu instid0(VALU_DEP_3) | instskip(NEXT) | instid1(SALU_CYCLE_1)
	s_and_b32 s0, vcc_lo, s0
	s_and_saveexec_b32 s1, s0
	s_delay_alu instid0(SALU_CYCLE_1)
	s_xor_b32 s0, exec_lo, s1
	s_cbranch_execz .LBB107_37
; %bb.36:
	v_mad_u64_u32 v[4:5], null, s12, 13, v[8:9]
	v_mov_b32_e32 v5, 0
                                        ; implicit-def: $vgpr8
                                        ; implicit-def: $vgpr9_vgpr10
                                        ; implicit-def: $vgpr11_vgpr12
	s_delay_alu instid0(VALU_DEP_1) | instskip(NEXT) | instid1(VALU_DEP_1)
	v_lshlrev_b64 v[4:5], 4, v[4:5]
	v_add_co_u32 v4, vcc_lo, s8, v4
	s_delay_alu instid0(VALU_DEP_2)
	v_add_co_ci_u32_e32 v5, vcc_lo, s9, v5, vcc_lo
	global_store_b128 v[4:5], v[0:3], off
                                        ; implicit-def: $vgpr0_vgpr1
.LBB107_37:
	s_and_not1_saveexec_b32 s0, s0
	s_cbranch_execz .LBB107_39
; %bb.38:
	v_mad_u64_u32 v[4:5], null, s12, 13, v[8:9]
	v_mov_b32_e32 v5, 0
	s_delay_alu instid0(VALU_DEP_1) | instskip(NEXT) | instid1(VALU_DEP_1)
	v_lshlrev_b64 v[4:5], 4, v[4:5]
	v_add_co_u32 v13, vcc_lo, s8, v4
	s_delay_alu instid0(VALU_DEP_2) | instskip(SKIP_4) | instid1(VALU_DEP_2)
	v_add_co_ci_u32_e32 v14, vcc_lo, s9, v5, vcc_lo
	global_load_b128 v[4:7], v[13:14], off
	s_waitcnt vmcnt(0)
	v_fma_f64 v[0:1], v[9:10], v[4:5], v[0:1]
	v_fma_f64 v[2:3], v[11:12], v[4:5], v[2:3]
	v_fma_f64 v[0:1], -v[11:12], v[6:7], v[0:1]
	s_delay_alu instid0(VALU_DEP_2)
	v_fma_f64 v[2:3], v[9:10], v[6:7], v[2:3]
	global_store_b128 v[13:14], v[0:3], off
.LBB107_39:
	s_nop 0
	s_sendmsg sendmsg(MSG_DEALLOC_VGPRS)
	s_endpgm
	.section	.rodata,"a",@progbits
	.p2align	6, 0x0
	.amdhsa_kernel _ZN9rocsparseL22gebsrmvn_mxn_16_kernelILj78ELj13ELj6E21rocsparse_complex_numIdEEEvi20rocsparse_direction_NS_24const_host_device_scalarIT2_EEPKiS8_PKS5_iiSA_S6_PS5_21rocsparse_index_base_b
		.amdhsa_group_segment_fixed_size 2496
		.amdhsa_private_segment_fixed_size 0
		.amdhsa_kernarg_size 96
		.amdhsa_user_sgpr_count 15
		.amdhsa_user_sgpr_dispatch_ptr 1
		.amdhsa_user_sgpr_queue_ptr 0
		.amdhsa_user_sgpr_kernarg_segment_ptr 1
		.amdhsa_user_sgpr_dispatch_id 0
		.amdhsa_user_sgpr_private_segment_size 0
		.amdhsa_wavefront_size32 1
		.amdhsa_uses_dynamic_stack 0
		.amdhsa_enable_private_segment 0
		.amdhsa_system_sgpr_workgroup_id_x 1
		.amdhsa_system_sgpr_workgroup_id_y 0
		.amdhsa_system_sgpr_workgroup_id_z 0
		.amdhsa_system_sgpr_workgroup_info 0
		.amdhsa_system_vgpr_workitem_id 2
		.amdhsa_next_free_vgpr 28
		.amdhsa_next_free_sgpr 18
		.amdhsa_reserve_vcc 1
		.amdhsa_float_round_mode_32 0
		.amdhsa_float_round_mode_16_64 0
		.amdhsa_float_denorm_mode_32 3
		.amdhsa_float_denorm_mode_16_64 3
		.amdhsa_dx10_clamp 1
		.amdhsa_ieee_mode 1
		.amdhsa_fp16_overflow 0
		.amdhsa_workgroup_processor_mode 1
		.amdhsa_memory_ordered 1
		.amdhsa_forward_progress 0
		.amdhsa_shared_vgpr_count 0
		.amdhsa_exception_fp_ieee_invalid_op 0
		.amdhsa_exception_fp_denorm_src 0
		.amdhsa_exception_fp_ieee_div_zero 0
		.amdhsa_exception_fp_ieee_overflow 0
		.amdhsa_exception_fp_ieee_underflow 0
		.amdhsa_exception_fp_ieee_inexact 0
		.amdhsa_exception_int_div_zero 0
	.end_amdhsa_kernel
	.section	.text._ZN9rocsparseL22gebsrmvn_mxn_16_kernelILj78ELj13ELj6E21rocsparse_complex_numIdEEEvi20rocsparse_direction_NS_24const_host_device_scalarIT2_EEPKiS8_PKS5_iiSA_S6_PS5_21rocsparse_index_base_b,"axG",@progbits,_ZN9rocsparseL22gebsrmvn_mxn_16_kernelILj78ELj13ELj6E21rocsparse_complex_numIdEEEvi20rocsparse_direction_NS_24const_host_device_scalarIT2_EEPKiS8_PKS5_iiSA_S6_PS5_21rocsparse_index_base_b,comdat
.Lfunc_end107:
	.size	_ZN9rocsparseL22gebsrmvn_mxn_16_kernelILj78ELj13ELj6E21rocsparse_complex_numIdEEEvi20rocsparse_direction_NS_24const_host_device_scalarIT2_EEPKiS8_PKS5_iiSA_S6_PS5_21rocsparse_index_base_b, .Lfunc_end107-_ZN9rocsparseL22gebsrmvn_mxn_16_kernelILj78ELj13ELj6E21rocsparse_complex_numIdEEEvi20rocsparse_direction_NS_24const_host_device_scalarIT2_EEPKiS8_PKS5_iiSA_S6_PS5_21rocsparse_index_base_b
                                        ; -- End function
	.section	.AMDGPU.csdata,"",@progbits
; Kernel info:
; codeLenInByte = 1744
; NumSgprs: 20
; NumVgprs: 28
; ScratchSize: 0
; MemoryBound: 0
; FloatMode: 240
; IeeeMode: 1
; LDSByteSize: 2496 bytes/workgroup (compile time only)
; SGPRBlocks: 2
; VGPRBlocks: 3
; NumSGPRsForWavesPerEU: 20
; NumVGPRsForWavesPerEU: 28
; Occupancy: 16
; WaveLimiterHint : 1
; COMPUTE_PGM_RSRC2:SCRATCH_EN: 0
; COMPUTE_PGM_RSRC2:USER_SGPR: 15
; COMPUTE_PGM_RSRC2:TRAP_HANDLER: 0
; COMPUTE_PGM_RSRC2:TGID_X_EN: 1
; COMPUTE_PGM_RSRC2:TGID_Y_EN: 0
; COMPUTE_PGM_RSRC2:TGID_Z_EN: 0
; COMPUTE_PGM_RSRC2:TIDIG_COMP_CNT: 2
	.section	.text._ZN9rocsparseL22gebsrmvn_mxn_16_kernelILj91ELj13ELj7E21rocsparse_complex_numIdEEEvi20rocsparse_direction_NS_24const_host_device_scalarIT2_EEPKiS8_PKS5_iiSA_S6_PS5_21rocsparse_index_base_b,"axG",@progbits,_ZN9rocsparseL22gebsrmvn_mxn_16_kernelILj91ELj13ELj7E21rocsparse_complex_numIdEEEvi20rocsparse_direction_NS_24const_host_device_scalarIT2_EEPKiS8_PKS5_iiSA_S6_PS5_21rocsparse_index_base_b,comdat
	.globl	_ZN9rocsparseL22gebsrmvn_mxn_16_kernelILj91ELj13ELj7E21rocsparse_complex_numIdEEEvi20rocsparse_direction_NS_24const_host_device_scalarIT2_EEPKiS8_PKS5_iiSA_S6_PS5_21rocsparse_index_base_b ; -- Begin function _ZN9rocsparseL22gebsrmvn_mxn_16_kernelILj91ELj13ELj7E21rocsparse_complex_numIdEEEvi20rocsparse_direction_NS_24const_host_device_scalarIT2_EEPKiS8_PKS5_iiSA_S6_PS5_21rocsparse_index_base_b
	.p2align	8
	.type	_ZN9rocsparseL22gebsrmvn_mxn_16_kernelILj91ELj13ELj7E21rocsparse_complex_numIdEEEvi20rocsparse_direction_NS_24const_host_device_scalarIT2_EEPKiS8_PKS5_iiSA_S6_PS5_21rocsparse_index_base_b,@function
_ZN9rocsparseL22gebsrmvn_mxn_16_kernelILj91ELj13ELj7E21rocsparse_complex_numIdEEEvi20rocsparse_direction_NS_24const_host_device_scalarIT2_EEPKiS8_PKS5_iiSA_S6_PS5_21rocsparse_index_base_b: ; @_ZN9rocsparseL22gebsrmvn_mxn_16_kernelILj91ELj13ELj7E21rocsparse_complex_numIdEEEvi20rocsparse_direction_NS_24const_host_device_scalarIT2_EEPKiS8_PKS5_iiSA_S6_PS5_21rocsparse_index_base_b
; %bb.0:
	s_mov_b32 s12, s15
	s_load_b64 s[14:15], s[2:3], 0x58
	s_load_b64 s[16:17], s[0:1], 0x4
	s_load_b128 s[8:11], s[2:3], 0x8
	v_bfe_u32 v1, v0, 10, 10
	s_mov_b64 s[0:1], src_shared_base
	s_load_b128 s[4:7], s[2:3], 0x40
	v_and_b32_e32 v8, 0x3ff, v0
	v_bfe_u32 v0, v0, 20, 10
	s_waitcnt lgkmcnt(0)
	s_bitcmp1_b32 s15, 0
	v_mul_u32_u24_e32 v1, s17, v1
	s_cselect_b32 s0, -1, 0
	v_mov_b32_e32 v16, s11
	s_and_b32 vcc_lo, s0, exec_lo
	s_cselect_b32 s13, s1, s9
	s_lshr_b32 s15, s16, 16
	v_dual_mov_b32 v2, s4 :: v_dual_mov_b32 v5, s13
	s_mul_i32 s15, s15, s17
	v_mov_b32_e32 v3, s5
	v_mad_u32_u24 v1, s15, v8, v1
	v_mov_b32_e32 v15, s10
	s_xor_b32 s10, s0, -1
	s_delay_alu instid0(VALU_DEP_2) | instskip(SKIP_1) | instid1(VALU_DEP_2)
	v_add_lshl_u32 v6, v1, v0, 3
	v_dual_mov_b32 v0, s8 :: v_dual_mov_b32 v1, s9
	v_add_nc_u32_e32 v7, 0x400, v6
	v_add_nc_u32_e32 v4, 0x888, v6
	ds_store_2addr_b64 v7, v[2:3], v[0:1] offset0:54 offset1:145
	v_cndmask_b32_e64 v4, s8, v4, s0
	v_add_nc_u32_e32 v0, 0x5b0, v6
	flat_load_b64 v[13:14], v[4:5]
	s_cbranch_vccnz .LBB108_2
; %bb.1:
	v_dual_mov_b32 v1, s8 :: v_dual_mov_b32 v2, s9
	flat_load_b64 v[15:16], v[1:2] offset:8
.LBB108_2:
	s_and_b32 s8, s0, exec_lo
	s_cselect_b32 s1, s1, s5
	v_cndmask_b32_e64 v0, s4, v0, s0
	v_dual_mov_b32 v1, s1 :: v_dual_mov_b32 v12, s7
	v_mov_b32_e32 v11, s6
	s_and_not1_b32 vcc_lo, exec_lo, s10
	flat_load_b64 v[9:10], v[0:1]
	s_cbranch_vccnz .LBB108_4
; %bb.3:
	v_dual_mov_b32 v0, s4 :: v_dual_mov_b32 v1, s5
	flat_load_b64 v[11:12], v[0:1] offset:8
.LBB108_4:
	s_waitcnt vmcnt(1) lgkmcnt(1)
	v_cmp_eq_f64_e32 vcc_lo, 0, v[13:14]
	v_cmp_eq_f64_e64 s0, 0, v[15:16]
	s_delay_alu instid0(VALU_DEP_1)
	s_and_b32 s4, vcc_lo, s0
	s_mov_b32 s0, -1
	s_and_saveexec_b32 s1, s4
	s_cbranch_execz .LBB108_6
; %bb.5:
	s_waitcnt vmcnt(0) lgkmcnt(0)
	v_cmp_neq_f64_e32 vcc_lo, 1.0, v[9:10]
	v_cmp_neq_f64_e64 s0, 0, v[11:12]
	s_delay_alu instid0(VALU_DEP_1) | instskip(NEXT) | instid1(SALU_CYCLE_1)
	s_or_b32 s0, vcc_lo, s0
	s_or_not1_b32 s0, s0, exec_lo
.LBB108_6:
	s_or_b32 exec_lo, exec_lo, s1
	s_and_saveexec_b32 s1, s0
	s_cbranch_execz .LBB108_39
; %bb.7:
	v_mul_u32_u24_e32 v0, 0x2493, v8
	s_clause 0x1
	s_load_b32 s4, s[2:3], 0x4
	s_load_b64 s[0:1], s[2:3], 0x18
	s_delay_alu instid0(VALU_DEP_1) | instskip(NEXT) | instid1(VALU_DEP_1)
	v_lshrrev_b32_e32 v0, 16, v0
	v_mul_lo_u16 v0, v0, 7
	s_delay_alu instid0(VALU_DEP_1) | instskip(NEXT) | instid1(VALU_DEP_1)
	v_sub_nc_u16 v0, v8, v0
	v_and_b32_e32 v7, 0xffff, v0
	s_waitcnt lgkmcnt(0)
	s_cmp_lg_u32 s4, 1
	v_and_b32_e32 v5, 0xffff, v8
	s_cselect_b32 s15, -1, 0
	v_mov_b32_e32 v4, v7
	s_and_b32 vcc_lo, exec_lo, s15
	s_cbranch_vccnz .LBB108_9
; %bb.8:
	v_mul_u32_u24_e32 v0, 0x13b2, v5
	s_delay_alu instid0(VALU_DEP_1) | instskip(NEXT) | instid1(VALU_DEP_1)
	v_lshrrev_b32_e32 v0, 16, v0
	v_mul_lo_u16 v1, v0, 37
	s_delay_alu instid0(VALU_DEP_1) | instskip(NEXT) | instid1(VALU_DEP_1)
	v_lshrrev_b16 v1, 8, v1
	v_mul_lo_u16 v1, v1, 7
	s_delay_alu instid0(VALU_DEP_1) | instskip(NEXT) | instid1(VALU_DEP_1)
	v_sub_nc_u16 v0, v0, v1
	v_and_b32_e32 v4, 0xff, v0
.LBB108_9:
	s_ashr_i32 s13, s12, 31
	v_mov_b32_e32 v2, 0
	s_lshl_b64 s[4:5], s[12:13], 2
	v_mov_b32_e32 v3, 0
	s_add_u32 s0, s0, s4
	s_addc_u32 s1, s1, s5
	v_mov_b32_e32 v0, v2
	s_load_b64 s[10:11], s[0:1], 0x0
	s_load_b64 s[8:9], s[2:3], 0x50
	v_mov_b32_e32 v1, v3
	s_waitcnt lgkmcnt(0)
	s_cmp_ge_i32 s10, s11
	s_cbranch_scc1 .LBB108_14
; %bb.10:
	s_clause 0x1
	s_load_b128 s[4:7], s[2:3], 0x20
	s_load_b64 s[0:1], s[2:3], 0x38
	s_waitcnt vmcnt(0)
	v_mad_u64_u32 v[0:1], null, 0x5b, s10, v[8:9]
	v_mov_b32_e32 v2, 0
	v_mul_u32_u24_e32 v1, 0x2d1, v5
	v_dual_mov_b32 v3, 0 :: v_dual_mov_b32 v6, 0
	s_mul_i32 s2, s14, 0x5b
	s_sub_i32 s3, s10, s14
	s_delay_alu instid0(VALU_DEP_2)
	v_lshrrev_b32_e32 v19, 16, v1
	v_subrev_nc_u32_e32 v5, s2, v0
	v_dual_mov_b32 v0, v2 :: v_dual_mov_b32 v1, v3
	s_sub_i32 s2, s11, s14
	s_set_inst_prefetch_distance 0x1
	s_branch .LBB108_12
	.p2align	6
.LBB108_11:                             ;   in Loop: Header=BB108_12 Depth=1
	s_or_b32 exec_lo, exec_lo, s10
	v_add_nc_u32_e32 v5, 0x5b, v5
	s_add_i32 s3, s3, 1
	s_delay_alu instid0(SALU_CYCLE_1)
	s_cmp_ge_i32 s3, s2
	s_cbranch_scc1 .LBB108_14
.LBB108_12:                             ; =>This Inner Loop Header: Depth=1
	v_add_nc_u32_e32 v17, s3, v19
	s_mov_b32 s10, exec_lo
	s_delay_alu instid0(VALU_DEP_1)
	v_cmpx_gt_i32_e64 s2, v17
	s_cbranch_execz .LBB108_11
; %bb.13:                               ;   in Loop: Header=BB108_12 Depth=1
	v_ashrrev_i32_e32 v18, 31, v17
	s_delay_alu instid0(VALU_DEP_1) | instskip(SKIP_1) | instid1(VALU_DEP_1)
	v_lshlrev_b64 v[17:18], 2, v[17:18]
	s_waitcnt lgkmcnt(0)
	v_add_co_u32 v17, vcc_lo, s4, v17
	s_delay_alu instid0(VALU_DEP_2) | instskip(SKIP_3) | instid1(VALU_DEP_1)
	v_add_co_ci_u32_e32 v18, vcc_lo, s5, v18, vcc_lo
	global_load_b32 v17, v[17:18], off
	s_waitcnt vmcnt(0)
	v_subrev_nc_u32_e32 v20, s14, v17
	v_mad_u64_u32 v[17:18], null, v20, 7, v[4:5]
	v_lshlrev_b64 v[20:21], 4, v[5:6]
	s_delay_alu instid0(VALU_DEP_1) | instskip(NEXT) | instid1(VALU_DEP_3)
	v_add_co_u32 v20, vcc_lo, s6, v20
	v_ashrrev_i32_e32 v18, 31, v17
	s_delay_alu instid0(VALU_DEP_3) | instskip(NEXT) | instid1(VALU_DEP_2)
	v_add_co_ci_u32_e32 v21, vcc_lo, s7, v21, vcc_lo
	v_lshlrev_b64 v[17:18], 4, v[17:18]
	s_delay_alu instid0(VALU_DEP_1) | instskip(NEXT) | instid1(VALU_DEP_2)
	v_add_co_u32 v17, vcc_lo, s0, v17
	v_add_co_ci_u32_e32 v18, vcc_lo, s1, v18, vcc_lo
	global_load_b128 v[20:23], v[20:21], off
	global_load_b128 v[24:27], v[17:18], off
	s_waitcnt vmcnt(0)
	v_fma_f64 v[0:1], v[20:21], v[24:25], v[0:1]
	v_fma_f64 v[2:3], v[22:23], v[24:25], v[2:3]
	s_delay_alu instid0(VALU_DEP_2) | instskip(NEXT) | instid1(VALU_DEP_2)
	v_fma_f64 v[0:1], -v[22:23], v[26:27], v[0:1]
	v_fma_f64 v[2:3], v[20:21], v[26:27], v[2:3]
	s_branch .LBB108_11
.LBB108_14:
	s_set_inst_prefetch_distance 0x2
	v_lshlrev_b32_e32 v17, 4, v8
	s_and_b32 vcc_lo, exec_lo, s15
	ds_store_b128 v17, v[0:3]
	s_waitcnt vmcnt(0) lgkmcnt(0)
	s_barrier
	buffer_gl0_inv
	s_cbranch_vccz .LBB108_24
; %bb.15:
	s_mov_b32 s0, exec_lo
	v_cmpx_gt_u16_e32 3, v7
	s_cbranch_execz .LBB108_17
; %bb.16:
	ds_load_b128 v[18:21], v17 offset:64
	ds_load_b128 v[22:25], v17
	s_waitcnt lgkmcnt(0)
	v_add_f64 v[18:19], v[18:19], v[22:23]
	v_add_f64 v[20:21], v[20:21], v[24:25]
	ds_store_b128 v17, v[18:21]
.LBB108_17:
	s_or_b32 exec_lo, exec_lo, s0
	s_delay_alu instid0(SALU_CYCLE_1)
	s_mov_b32 s0, exec_lo
	s_waitcnt lgkmcnt(0)
	s_barrier
	buffer_gl0_inv
	v_cmpx_gt_u16_e32 2, v7
	s_cbranch_execz .LBB108_19
; %bb.18:
	ds_load_b128 v[18:21], v17
	ds_load_b128 v[22:25], v17 offset:32
	s_waitcnt lgkmcnt(0)
	v_add_f64 v[18:19], v[22:23], v[18:19]
	v_add_f64 v[20:21], v[24:25], v[20:21]
	ds_store_b128 v17, v[18:21]
.LBB108_19:
	s_or_b32 exec_lo, exec_lo, s0
	s_delay_alu instid0(SALU_CYCLE_1)
	s_mov_b32 s0, exec_lo
	s_waitcnt lgkmcnt(0)
	s_barrier
	buffer_gl0_inv
	v_cmpx_eq_u16_e32 0, v7
	s_cbranch_execz .LBB108_21
; %bb.20:
	ds_load_b128 v[4:7], v17
	ds_load_b128 v[18:21], v17 offset:16
	s_waitcnt lgkmcnt(0)
	v_add_f64 v[4:5], v[18:19], v[4:5]
	v_add_f64 v[6:7], v[20:21], v[6:7]
	ds_store_b128 v17, v[4:7]
.LBB108_21:
	s_or_b32 exec_lo, exec_lo, s0
	v_dual_mov_b32 v7, v3 :: v_dual_mov_b32 v6, v2
	v_dual_mov_b32 v5, v1 :: v_dual_mov_b32 v4, v0
	s_mov_b32 s0, exec_lo
	s_waitcnt lgkmcnt(0)
	s_barrier
	buffer_gl0_inv
	v_cmpx_gt_u32_e32 13, v8
	s_cbranch_execz .LBB108_23
; %bb.22:
	v_mad_u32_u24 v4, 0x60, v8, v17
	ds_load_b128 v[4:7], v4
.LBB108_23:
	s_or_b32 exec_lo, exec_lo, s0
	s_branch .LBB108_34
.LBB108_24:
                                        ; implicit-def: $vgpr6_vgpr7
	s_cbranch_execz .LBB108_34
; %bb.25:
	s_mov_b32 s0, exec_lo
	v_cmpx_gt_u32_e32 39, v8
	s_cbranch_execz .LBB108_27
; %bb.26:
	s_waitcnt lgkmcnt(0)
	ds_load_b128 v[4:7], v17 offset:832
	ds_load_b128 v[18:21], v17
	s_waitcnt lgkmcnt(0)
	v_add_f64 v[4:5], v[4:5], v[18:19]
	v_add_f64 v[6:7], v[6:7], v[20:21]
	ds_store_b128 v17, v[4:7]
.LBB108_27:
	s_or_b32 exec_lo, exec_lo, s0
	s_delay_alu instid0(SALU_CYCLE_1)
	s_mov_b32 s0, exec_lo
	s_waitcnt lgkmcnt(0)
	s_barrier
	buffer_gl0_inv
	v_cmpx_gt_u32_e32 26, v8
	s_cbranch_execz .LBB108_29
; %bb.28:
	ds_load_b128 v[4:7], v17 offset:416
	ds_load_b128 v[18:21], v17
	s_waitcnt lgkmcnt(0)
	v_add_f64 v[4:5], v[4:5], v[18:19]
	v_add_f64 v[6:7], v[6:7], v[20:21]
	ds_store_b128 v17, v[4:7]
.LBB108_29:
	s_or_b32 exec_lo, exec_lo, s0
	s_delay_alu instid0(SALU_CYCLE_1)
	s_mov_b32 s0, exec_lo
	s_waitcnt lgkmcnt(0)
	buffer_gl0_inv
	v_cmpx_lt_u32_e32 12, v8
	s_xor_b32 s0, exec_lo, s0
	s_cbranch_execz .LBB108_31
; %bb.30:
	buffer_gl0_inv
                                        ; implicit-def: $vgpr17
.LBB108_31:
	s_and_not1_saveexec_b32 s0, s0
	s_cbranch_execz .LBB108_33
; %bb.32:
	ds_load_b128 v[0:3], v17 offset:208
	ds_load_b128 v[4:7], v17
	s_waitcnt lgkmcnt(0)
	v_add_f64 v[0:1], v[0:1], v[4:5]
	v_add_f64 v[2:3], v[2:3], v[6:7]
	ds_store_b128 v17, v[0:3]
	s_waitcnt lgkmcnt(0)
	buffer_gl0_inv
	ds_load_b128 v[0:3], v17
.LBB108_33:
	s_or_b32 exec_lo, exec_lo, s0
	s_waitcnt lgkmcnt(0)
	v_dual_mov_b32 v7, v3 :: v_dual_mov_b32 v6, v2
	v_dual_mov_b32 v5, v1 :: v_dual_mov_b32 v4, v0
.LBB108_34:
	v_cmp_gt_u32_e32 vcc_lo, 13, v8
	s_and_b32 exec_lo, exec_lo, vcc_lo
	s_cbranch_execz .LBB108_39
; %bb.35:
	s_waitcnt lgkmcnt(0)
	v_mul_f64 v[0:1], v[6:7], -v[15:16]
	v_mul_f64 v[2:3], v[13:14], v[6:7]
	v_cmp_eq_f64_e32 vcc_lo, 0, v[9:10]
	v_cmp_eq_f64_e64 s0, 0, v[11:12]
	s_delay_alu instid0(VALU_DEP_4) | instskip(NEXT) | instid1(VALU_DEP_4)
	v_fma_f64 v[0:1], v[13:14], v[4:5], v[0:1]
	v_fma_f64 v[2:3], v[15:16], v[4:5], v[2:3]
	s_delay_alu instid0(VALU_DEP_3) | instskip(NEXT) | instid1(SALU_CYCLE_1)
	s_and_b32 s0, vcc_lo, s0
	s_and_saveexec_b32 s1, s0
	s_delay_alu instid0(SALU_CYCLE_1)
	s_xor_b32 s0, exec_lo, s1
	s_cbranch_execz .LBB108_37
; %bb.36:
	v_mad_u64_u32 v[4:5], null, s12, 13, v[8:9]
	v_mov_b32_e32 v5, 0
                                        ; implicit-def: $vgpr8
                                        ; implicit-def: $vgpr9_vgpr10
                                        ; implicit-def: $vgpr11_vgpr12
	s_delay_alu instid0(VALU_DEP_1) | instskip(NEXT) | instid1(VALU_DEP_1)
	v_lshlrev_b64 v[4:5], 4, v[4:5]
	v_add_co_u32 v4, vcc_lo, s8, v4
	s_delay_alu instid0(VALU_DEP_2)
	v_add_co_ci_u32_e32 v5, vcc_lo, s9, v5, vcc_lo
	global_store_b128 v[4:5], v[0:3], off
                                        ; implicit-def: $vgpr0_vgpr1
.LBB108_37:
	s_and_not1_saveexec_b32 s0, s0
	s_cbranch_execz .LBB108_39
; %bb.38:
	v_mad_u64_u32 v[4:5], null, s12, 13, v[8:9]
	v_mov_b32_e32 v5, 0
	s_delay_alu instid0(VALU_DEP_1) | instskip(NEXT) | instid1(VALU_DEP_1)
	v_lshlrev_b64 v[4:5], 4, v[4:5]
	v_add_co_u32 v13, vcc_lo, s8, v4
	s_delay_alu instid0(VALU_DEP_2) | instskip(SKIP_4) | instid1(VALU_DEP_2)
	v_add_co_ci_u32_e32 v14, vcc_lo, s9, v5, vcc_lo
	global_load_b128 v[4:7], v[13:14], off
	s_waitcnt vmcnt(0)
	v_fma_f64 v[0:1], v[9:10], v[4:5], v[0:1]
	v_fma_f64 v[2:3], v[11:12], v[4:5], v[2:3]
	v_fma_f64 v[0:1], -v[11:12], v[6:7], v[0:1]
	s_delay_alu instid0(VALU_DEP_2)
	v_fma_f64 v[2:3], v[9:10], v[6:7], v[2:3]
	global_store_b128 v[13:14], v[0:3], off
.LBB108_39:
	s_nop 0
	s_sendmsg sendmsg(MSG_DEALLOC_VGPRS)
	s_endpgm
	.section	.rodata,"a",@progbits
	.p2align	6, 0x0
	.amdhsa_kernel _ZN9rocsparseL22gebsrmvn_mxn_16_kernelILj91ELj13ELj7E21rocsparse_complex_numIdEEEvi20rocsparse_direction_NS_24const_host_device_scalarIT2_EEPKiS8_PKS5_iiSA_S6_PS5_21rocsparse_index_base_b
		.amdhsa_group_segment_fixed_size 2912
		.amdhsa_private_segment_fixed_size 0
		.amdhsa_kernarg_size 96
		.amdhsa_user_sgpr_count 15
		.amdhsa_user_sgpr_dispatch_ptr 1
		.amdhsa_user_sgpr_queue_ptr 0
		.amdhsa_user_sgpr_kernarg_segment_ptr 1
		.amdhsa_user_sgpr_dispatch_id 0
		.amdhsa_user_sgpr_private_segment_size 0
		.amdhsa_wavefront_size32 1
		.amdhsa_uses_dynamic_stack 0
		.amdhsa_enable_private_segment 0
		.amdhsa_system_sgpr_workgroup_id_x 1
		.amdhsa_system_sgpr_workgroup_id_y 0
		.amdhsa_system_sgpr_workgroup_id_z 0
		.amdhsa_system_sgpr_workgroup_info 0
		.amdhsa_system_vgpr_workitem_id 2
		.amdhsa_next_free_vgpr 28
		.amdhsa_next_free_sgpr 18
		.amdhsa_reserve_vcc 1
		.amdhsa_float_round_mode_32 0
		.amdhsa_float_round_mode_16_64 0
		.amdhsa_float_denorm_mode_32 3
		.amdhsa_float_denorm_mode_16_64 3
		.amdhsa_dx10_clamp 1
		.amdhsa_ieee_mode 1
		.amdhsa_fp16_overflow 0
		.amdhsa_workgroup_processor_mode 1
		.amdhsa_memory_ordered 1
		.amdhsa_forward_progress 0
		.amdhsa_shared_vgpr_count 0
		.amdhsa_exception_fp_ieee_invalid_op 0
		.amdhsa_exception_fp_denorm_src 0
		.amdhsa_exception_fp_ieee_div_zero 0
		.amdhsa_exception_fp_ieee_overflow 0
		.amdhsa_exception_fp_ieee_underflow 0
		.amdhsa_exception_fp_ieee_inexact 0
		.amdhsa_exception_int_div_zero 0
	.end_amdhsa_kernel
	.section	.text._ZN9rocsparseL22gebsrmvn_mxn_16_kernelILj91ELj13ELj7E21rocsparse_complex_numIdEEEvi20rocsparse_direction_NS_24const_host_device_scalarIT2_EEPKiS8_PKS5_iiSA_S6_PS5_21rocsparse_index_base_b,"axG",@progbits,_ZN9rocsparseL22gebsrmvn_mxn_16_kernelILj91ELj13ELj7E21rocsparse_complex_numIdEEEvi20rocsparse_direction_NS_24const_host_device_scalarIT2_EEPKiS8_PKS5_iiSA_S6_PS5_21rocsparse_index_base_b,comdat
.Lfunc_end108:
	.size	_ZN9rocsparseL22gebsrmvn_mxn_16_kernelILj91ELj13ELj7E21rocsparse_complex_numIdEEEvi20rocsparse_direction_NS_24const_host_device_scalarIT2_EEPKiS8_PKS5_iiSA_S6_PS5_21rocsparse_index_base_b, .Lfunc_end108-_ZN9rocsparseL22gebsrmvn_mxn_16_kernelILj91ELj13ELj7E21rocsparse_complex_numIdEEEvi20rocsparse_direction_NS_24const_host_device_scalarIT2_EEPKiS8_PKS5_iiSA_S6_PS5_21rocsparse_index_base_b
                                        ; -- End function
	.section	.AMDGPU.csdata,"",@progbits
; Kernel info:
; codeLenInByte = 1768
; NumSgprs: 20
; NumVgprs: 28
; ScratchSize: 0
; MemoryBound: 0
; FloatMode: 240
; IeeeMode: 1
; LDSByteSize: 2912 bytes/workgroup (compile time only)
; SGPRBlocks: 2
; VGPRBlocks: 3
; NumSGPRsForWavesPerEU: 20
; NumVGPRsForWavesPerEU: 28
; Occupancy: 16
; WaveLimiterHint : 1
; COMPUTE_PGM_RSRC2:SCRATCH_EN: 0
; COMPUTE_PGM_RSRC2:USER_SGPR: 15
; COMPUTE_PGM_RSRC2:TRAP_HANDLER: 0
; COMPUTE_PGM_RSRC2:TGID_X_EN: 1
; COMPUTE_PGM_RSRC2:TGID_Y_EN: 0
; COMPUTE_PGM_RSRC2:TGID_Z_EN: 0
; COMPUTE_PGM_RSRC2:TIDIG_COMP_CNT: 2
	.section	.text._ZN9rocsparseL22gebsrmvn_mxn_16_kernelILj104ELj13ELj8E21rocsparse_complex_numIdEEEvi20rocsparse_direction_NS_24const_host_device_scalarIT2_EEPKiS8_PKS5_iiSA_S6_PS5_21rocsparse_index_base_b,"axG",@progbits,_ZN9rocsparseL22gebsrmvn_mxn_16_kernelILj104ELj13ELj8E21rocsparse_complex_numIdEEEvi20rocsparse_direction_NS_24const_host_device_scalarIT2_EEPKiS8_PKS5_iiSA_S6_PS5_21rocsparse_index_base_b,comdat
	.globl	_ZN9rocsparseL22gebsrmvn_mxn_16_kernelILj104ELj13ELj8E21rocsparse_complex_numIdEEEvi20rocsparse_direction_NS_24const_host_device_scalarIT2_EEPKiS8_PKS5_iiSA_S6_PS5_21rocsparse_index_base_b ; -- Begin function _ZN9rocsparseL22gebsrmvn_mxn_16_kernelILj104ELj13ELj8E21rocsparse_complex_numIdEEEvi20rocsparse_direction_NS_24const_host_device_scalarIT2_EEPKiS8_PKS5_iiSA_S6_PS5_21rocsparse_index_base_b
	.p2align	8
	.type	_ZN9rocsparseL22gebsrmvn_mxn_16_kernelILj104ELj13ELj8E21rocsparse_complex_numIdEEEvi20rocsparse_direction_NS_24const_host_device_scalarIT2_EEPKiS8_PKS5_iiSA_S6_PS5_21rocsparse_index_base_b,@function
_ZN9rocsparseL22gebsrmvn_mxn_16_kernelILj104ELj13ELj8E21rocsparse_complex_numIdEEEvi20rocsparse_direction_NS_24const_host_device_scalarIT2_EEPKiS8_PKS5_iiSA_S6_PS5_21rocsparse_index_base_b: ; @_ZN9rocsparseL22gebsrmvn_mxn_16_kernelILj104ELj13ELj8E21rocsparse_complex_numIdEEEvi20rocsparse_direction_NS_24const_host_device_scalarIT2_EEPKiS8_PKS5_iiSA_S6_PS5_21rocsparse_index_base_b
; %bb.0:
	s_mov_b32 s12, s15
	s_load_b64 s[14:15], s[2:3], 0x58
	s_load_b64 s[16:17], s[0:1], 0x4
	s_load_b128 s[8:11], s[2:3], 0x8
	v_bfe_u32 v1, v0, 10, 10
	s_mov_b64 s[0:1], src_shared_base
	s_load_b128 s[4:7], s[2:3], 0x40
	v_and_b32_e32 v8, 0x3ff, v0
	v_bfe_u32 v0, v0, 20, 10
	s_waitcnt lgkmcnt(0)
	s_bitcmp1_b32 s15, 0
	v_mul_u32_u24_e32 v1, s17, v1
	s_cselect_b32 s0, -1, 0
	v_mov_b32_e32 v16, s11
	s_and_b32 vcc_lo, s0, exec_lo
	s_cselect_b32 s13, s1, s9
	s_lshr_b32 s15, s16, 16
	v_dual_mov_b32 v2, s4 :: v_dual_mov_b32 v5, s13
	s_mul_i32 s15, s15, s17
	v_mov_b32_e32 v3, s5
	v_mad_u32_u24 v1, s15, v8, v1
	v_mov_b32_e32 v15, s10
	s_xor_b32 s10, s0, -1
	s_delay_alu instid0(VALU_DEP_2) | instskip(SKIP_1) | instid1(VALU_DEP_2)
	v_add_lshl_u32 v6, v1, v0, 3
	v_dual_mov_b32 v0, s8 :: v_dual_mov_b32 v1, s9
	v_add_nc_u32_e32 v7, 0x400, v6
	v_add_nc_u32_e32 v4, 0x9c0, v6
	ds_store_2addr_b64 v7, v[2:3], v[0:1] offset0:80 offset1:184
	v_cndmask_b32_e64 v4, s8, v4, s0
	v_add_nc_u32_e32 v0, 0x680, v6
	flat_load_b64 v[13:14], v[4:5]
	s_cbranch_vccnz .LBB109_2
; %bb.1:
	v_dual_mov_b32 v1, s8 :: v_dual_mov_b32 v2, s9
	flat_load_b64 v[15:16], v[1:2] offset:8
.LBB109_2:
	s_and_b32 s8, s0, exec_lo
	s_cselect_b32 s1, s1, s5
	v_cndmask_b32_e64 v0, s4, v0, s0
	v_dual_mov_b32 v1, s1 :: v_dual_mov_b32 v12, s7
	v_mov_b32_e32 v11, s6
	s_and_not1_b32 vcc_lo, exec_lo, s10
	flat_load_b64 v[9:10], v[0:1]
	s_cbranch_vccnz .LBB109_4
; %bb.3:
	v_dual_mov_b32 v0, s4 :: v_dual_mov_b32 v1, s5
	flat_load_b64 v[11:12], v[0:1] offset:8
.LBB109_4:
	s_waitcnt vmcnt(1) lgkmcnt(1)
	v_cmp_eq_f64_e32 vcc_lo, 0, v[13:14]
	v_cmp_eq_f64_e64 s0, 0, v[15:16]
	s_delay_alu instid0(VALU_DEP_1)
	s_and_b32 s4, vcc_lo, s0
	s_mov_b32 s0, -1
	s_and_saveexec_b32 s1, s4
	s_cbranch_execz .LBB109_6
; %bb.5:
	s_waitcnt vmcnt(0) lgkmcnt(0)
	v_cmp_neq_f64_e32 vcc_lo, 1.0, v[9:10]
	v_cmp_neq_f64_e64 s0, 0, v[11:12]
	s_delay_alu instid0(VALU_DEP_1) | instskip(NEXT) | instid1(SALU_CYCLE_1)
	s_or_b32 s0, vcc_lo, s0
	s_or_not1_b32 s0, s0, exec_lo
.LBB109_6:
	s_or_b32 exec_lo, exec_lo, s1
	s_and_saveexec_b32 s1, s0
	s_cbranch_execz .LBB109_39
; %bb.7:
	s_clause 0x1
	s_load_b32 s4, s[2:3], 0x4
	s_load_b64 s[0:1], s[2:3], 0x18
	v_and_b32_e32 v18, 7, v8
	s_delay_alu instid0(VALU_DEP_1) | instskip(SKIP_3) | instid1(SALU_CYCLE_1)
	v_mov_b32_e32 v17, v18
	s_waitcnt lgkmcnt(0)
	s_cmp_lg_u32 s4, 1
	s_cselect_b32 s15, -1, 0
	s_and_b32 vcc_lo, exec_lo, s15
	s_cbranch_vccnz .LBB109_9
; %bb.8:
	v_mul_u32_u24_e32 v0, 0x13b2, v8
	s_delay_alu instid0(VALU_DEP_1)
	v_bfe_u32 v17, v0, 16, 3
.LBB109_9:
	s_ashr_i32 s13, s12, 31
	v_mov_b32_e32 v2, 0
	s_lshl_b64 s[4:5], s[12:13], 2
	v_mov_b32_e32 v3, 0
	s_add_u32 s0, s0, s4
	s_addc_u32 s1, s1, s5
	v_mov_b32_e32 v0, v2
	s_load_b64 s[10:11], s[0:1], 0x0
	s_load_b64 s[8:9], s[2:3], 0x50
	v_mov_b32_e32 v1, v3
	s_waitcnt lgkmcnt(0)
	s_cmp_ge_i32 s10, s11
	s_cbranch_scc1 .LBB109_14
; %bb.10:
	s_clause 0x1
	s_load_b128 s[4:7], s[2:3], 0x20
	s_load_b64 s[0:1], s[2:3], 0x38
	s_waitcnt vmcnt(0)
	v_mad_u64_u32 v[0:1], null, 0x68, s10, v[8:9]
	v_dual_mov_b32 v2, 0 :: v_dual_mov_b32 v5, 0
	v_mul_u32_u24_e32 v1, 0x277, v8
	v_mov_b32_e32 v3, 0
	s_mul_i32 s2, s14, 0x68
	s_sub_i32 s3, s10, s14
	s_delay_alu instid0(VALU_DEP_4)
	v_subrev_nc_u32_e32 v4, s2, v0
	v_lshrrev_b32_e32 v19, 16, v1
	v_dual_mov_b32 v0, v2 :: v_dual_mov_b32 v1, v3
	s_sub_i32 s2, s11, s14
	s_set_inst_prefetch_distance 0x1
	s_branch .LBB109_12
	.p2align	6
.LBB109_11:                             ;   in Loop: Header=BB109_12 Depth=1
	s_or_b32 exec_lo, exec_lo, s10
	v_add_nc_u32_e32 v4, 0x68, v4
	s_add_i32 s3, s3, 1
	s_delay_alu instid0(SALU_CYCLE_1)
	s_cmp_ge_i32 s3, s2
	s_cbranch_scc1 .LBB109_14
.LBB109_12:                             ; =>This Inner Loop Header: Depth=1
	v_add_nc_u32_e32 v6, s3, v19
	s_mov_b32 s10, exec_lo
	s_delay_alu instid0(VALU_DEP_1)
	v_cmpx_gt_i32_e64 s2, v6
	s_cbranch_execz .LBB109_11
; %bb.13:                               ;   in Loop: Header=BB109_12 Depth=1
	v_ashrrev_i32_e32 v7, 31, v6
	v_lshlrev_b64 v[20:21], 4, v[4:5]
	s_delay_alu instid0(VALU_DEP_2) | instskip(SKIP_1) | instid1(VALU_DEP_1)
	v_lshlrev_b64 v[6:7], 2, v[6:7]
	s_waitcnt lgkmcnt(0)
	v_add_co_u32 v6, vcc_lo, s4, v6
	s_delay_alu instid0(VALU_DEP_2) | instskip(NEXT) | instid1(VALU_DEP_4)
	v_add_co_ci_u32_e32 v7, vcc_lo, s5, v7, vcc_lo
	v_add_co_u32 v20, vcc_lo, s6, v20
	v_add_co_ci_u32_e32 v21, vcc_lo, s7, v21, vcc_lo
	global_load_b32 v6, v[6:7], off
	s_waitcnt vmcnt(0)
	v_subrev_nc_u32_e32 v6, s14, v6
	s_delay_alu instid0(VALU_DEP_1) | instskip(NEXT) | instid1(VALU_DEP_1)
	v_lshl_or_b32 v6, v6, 3, v17
	v_ashrrev_i32_e32 v7, 31, v6
	s_delay_alu instid0(VALU_DEP_1) | instskip(NEXT) | instid1(VALU_DEP_1)
	v_lshlrev_b64 v[6:7], 4, v[6:7]
	v_add_co_u32 v6, vcc_lo, s0, v6
	s_delay_alu instid0(VALU_DEP_2)
	v_add_co_ci_u32_e32 v7, vcc_lo, s1, v7, vcc_lo
	global_load_b128 v[20:23], v[20:21], off
	global_load_b128 v[24:27], v[6:7], off
	s_waitcnt vmcnt(0)
	v_fma_f64 v[0:1], v[20:21], v[24:25], v[0:1]
	v_fma_f64 v[2:3], v[22:23], v[24:25], v[2:3]
	s_delay_alu instid0(VALU_DEP_2) | instskip(NEXT) | instid1(VALU_DEP_2)
	v_fma_f64 v[0:1], -v[22:23], v[26:27], v[0:1]
	v_fma_f64 v[2:3], v[20:21], v[26:27], v[2:3]
	s_branch .LBB109_11
.LBB109_14:
	s_set_inst_prefetch_distance 0x2
	v_lshlrev_b32_e32 v17, 4, v8
	s_and_b32 vcc_lo, exec_lo, s15
	ds_store_b128 v17, v[0:3]
	s_waitcnt vmcnt(0) lgkmcnt(0)
	s_barrier
	buffer_gl0_inv
	s_cbranch_vccz .LBB109_24
; %bb.15:
	s_mov_b32 s0, exec_lo
	v_cmpx_gt_u32_e32 4, v18
	s_cbranch_execz .LBB109_17
; %bb.16:
	ds_load_b128 v[4:7], v17 offset:64
	ds_load_b128 v[19:22], v17
	s_waitcnt lgkmcnt(0)
	v_add_f64 v[4:5], v[4:5], v[19:20]
	v_add_f64 v[6:7], v[6:7], v[21:22]
	ds_store_b128 v17, v[4:7]
.LBB109_17:
	s_or_b32 exec_lo, exec_lo, s0
	s_delay_alu instid0(SALU_CYCLE_1)
	s_mov_b32 s0, exec_lo
	s_waitcnt lgkmcnt(0)
	s_barrier
	buffer_gl0_inv
	v_cmpx_gt_u32_e32 2, v18
	s_cbranch_execz .LBB109_19
; %bb.18:
	ds_load_b128 v[4:7], v17
	ds_load_b128 v[19:22], v17 offset:32
	s_waitcnt lgkmcnt(0)
	v_add_f64 v[4:5], v[19:20], v[4:5]
	v_add_f64 v[6:7], v[21:22], v[6:7]
	ds_store_b128 v17, v[4:7]
.LBB109_19:
	s_or_b32 exec_lo, exec_lo, s0
	s_delay_alu instid0(SALU_CYCLE_1)
	s_mov_b32 s0, exec_lo
	s_waitcnt lgkmcnt(0)
	s_barrier
	buffer_gl0_inv
	v_cmpx_eq_u32_e32 0, v18
	s_cbranch_execz .LBB109_21
; %bb.20:
	ds_load_b128 v[4:7], v17
	ds_load_b128 v[18:21], v17 offset:16
	s_waitcnt lgkmcnt(0)
	v_add_f64 v[4:5], v[18:19], v[4:5]
	v_add_f64 v[6:7], v[20:21], v[6:7]
	ds_store_b128 v17, v[4:7]
.LBB109_21:
	s_or_b32 exec_lo, exec_lo, s0
	v_dual_mov_b32 v7, v3 :: v_dual_mov_b32 v6, v2
	v_dual_mov_b32 v5, v1 :: v_dual_mov_b32 v4, v0
	s_mov_b32 s0, exec_lo
	s_waitcnt lgkmcnt(0)
	s_barrier
	buffer_gl0_inv
	v_cmpx_gt_u32_e32 13, v8
	s_cbranch_execz .LBB109_23
; %bb.22:
	v_mad_u32_u24 v4, 0x70, v8, v17
	ds_load_b128 v[4:7], v4
.LBB109_23:
	s_or_b32 exec_lo, exec_lo, s0
	s_branch .LBB109_34
.LBB109_24:
                                        ; implicit-def: $vgpr6_vgpr7
	s_cbranch_execz .LBB109_34
; %bb.25:
	s_mov_b32 s0, exec_lo
	v_cmpx_gt_u32_e32 52, v8
	s_cbranch_execz .LBB109_27
; %bb.26:
	s_waitcnt lgkmcnt(0)
	ds_load_b128 v[4:7], v17 offset:832
	ds_load_b128 v[18:21], v17
	s_waitcnt lgkmcnt(0)
	v_add_f64 v[4:5], v[4:5], v[18:19]
	v_add_f64 v[6:7], v[6:7], v[20:21]
	ds_store_b128 v17, v[4:7]
.LBB109_27:
	s_or_b32 exec_lo, exec_lo, s0
	s_delay_alu instid0(SALU_CYCLE_1)
	s_mov_b32 s0, exec_lo
	s_waitcnt lgkmcnt(0)
	s_barrier
	buffer_gl0_inv
	v_cmpx_gt_u32_e32 26, v8
	s_cbranch_execz .LBB109_29
; %bb.28:
	ds_load_b128 v[4:7], v17 offset:416
	ds_load_b128 v[18:21], v17
	s_waitcnt lgkmcnt(0)
	v_add_f64 v[4:5], v[4:5], v[18:19]
	v_add_f64 v[6:7], v[6:7], v[20:21]
	ds_store_b128 v17, v[4:7]
.LBB109_29:
	s_or_b32 exec_lo, exec_lo, s0
	s_delay_alu instid0(SALU_CYCLE_1)
	s_mov_b32 s0, exec_lo
	s_waitcnt lgkmcnt(0)
	buffer_gl0_inv
	v_cmpx_lt_u32_e32 12, v8
	s_xor_b32 s0, exec_lo, s0
	s_cbranch_execz .LBB109_31
; %bb.30:
	buffer_gl0_inv
                                        ; implicit-def: $vgpr17
.LBB109_31:
	s_and_not1_saveexec_b32 s0, s0
	s_cbranch_execz .LBB109_33
; %bb.32:
	ds_load_b128 v[0:3], v17 offset:208
	ds_load_b128 v[4:7], v17
	s_waitcnt lgkmcnt(0)
	v_add_f64 v[0:1], v[0:1], v[4:5]
	v_add_f64 v[2:3], v[2:3], v[6:7]
	ds_store_b128 v17, v[0:3]
	s_waitcnt lgkmcnt(0)
	buffer_gl0_inv
	ds_load_b128 v[0:3], v17
.LBB109_33:
	s_or_b32 exec_lo, exec_lo, s0
	s_waitcnt lgkmcnt(0)
	v_dual_mov_b32 v7, v3 :: v_dual_mov_b32 v6, v2
	v_dual_mov_b32 v5, v1 :: v_dual_mov_b32 v4, v0
.LBB109_34:
	v_cmp_gt_u32_e32 vcc_lo, 13, v8
	s_and_b32 exec_lo, exec_lo, vcc_lo
	s_cbranch_execz .LBB109_39
; %bb.35:
	s_waitcnt lgkmcnt(0)
	v_mul_f64 v[0:1], v[6:7], -v[15:16]
	v_mul_f64 v[2:3], v[13:14], v[6:7]
	v_cmp_eq_f64_e32 vcc_lo, 0, v[9:10]
	v_cmp_eq_f64_e64 s0, 0, v[11:12]
	s_delay_alu instid0(VALU_DEP_4) | instskip(NEXT) | instid1(VALU_DEP_4)
	v_fma_f64 v[0:1], v[13:14], v[4:5], v[0:1]
	v_fma_f64 v[2:3], v[15:16], v[4:5], v[2:3]
	s_delay_alu instid0(VALU_DEP_3) | instskip(NEXT) | instid1(SALU_CYCLE_1)
	s_and_b32 s0, vcc_lo, s0
	s_and_saveexec_b32 s1, s0
	s_delay_alu instid0(SALU_CYCLE_1)
	s_xor_b32 s0, exec_lo, s1
	s_cbranch_execz .LBB109_37
; %bb.36:
	v_mad_u64_u32 v[4:5], null, s12, 13, v[8:9]
	v_mov_b32_e32 v5, 0
                                        ; implicit-def: $vgpr8
                                        ; implicit-def: $vgpr9_vgpr10
                                        ; implicit-def: $vgpr11_vgpr12
	s_delay_alu instid0(VALU_DEP_1) | instskip(NEXT) | instid1(VALU_DEP_1)
	v_lshlrev_b64 v[4:5], 4, v[4:5]
	v_add_co_u32 v4, vcc_lo, s8, v4
	s_delay_alu instid0(VALU_DEP_2)
	v_add_co_ci_u32_e32 v5, vcc_lo, s9, v5, vcc_lo
	global_store_b128 v[4:5], v[0:3], off
                                        ; implicit-def: $vgpr0_vgpr1
.LBB109_37:
	s_and_not1_saveexec_b32 s0, s0
	s_cbranch_execz .LBB109_39
; %bb.38:
	v_mad_u64_u32 v[4:5], null, s12, 13, v[8:9]
	v_mov_b32_e32 v5, 0
	s_delay_alu instid0(VALU_DEP_1) | instskip(NEXT) | instid1(VALU_DEP_1)
	v_lshlrev_b64 v[4:5], 4, v[4:5]
	v_add_co_u32 v13, vcc_lo, s8, v4
	s_delay_alu instid0(VALU_DEP_2) | instskip(SKIP_4) | instid1(VALU_DEP_2)
	v_add_co_ci_u32_e32 v14, vcc_lo, s9, v5, vcc_lo
	global_load_b128 v[4:7], v[13:14], off
	s_waitcnt vmcnt(0)
	v_fma_f64 v[0:1], v[9:10], v[4:5], v[0:1]
	v_fma_f64 v[2:3], v[11:12], v[4:5], v[2:3]
	v_fma_f64 v[0:1], -v[11:12], v[6:7], v[0:1]
	s_delay_alu instid0(VALU_DEP_2)
	v_fma_f64 v[2:3], v[9:10], v[6:7], v[2:3]
	global_store_b128 v[13:14], v[0:3], off
.LBB109_39:
	s_nop 0
	s_sendmsg sendmsg(MSG_DEALLOC_VGPRS)
	s_endpgm
	.section	.rodata,"a",@progbits
	.p2align	6, 0x0
	.amdhsa_kernel _ZN9rocsparseL22gebsrmvn_mxn_16_kernelILj104ELj13ELj8E21rocsparse_complex_numIdEEEvi20rocsparse_direction_NS_24const_host_device_scalarIT2_EEPKiS8_PKS5_iiSA_S6_PS5_21rocsparse_index_base_b
		.amdhsa_group_segment_fixed_size 3328
		.amdhsa_private_segment_fixed_size 0
		.amdhsa_kernarg_size 96
		.amdhsa_user_sgpr_count 15
		.amdhsa_user_sgpr_dispatch_ptr 1
		.amdhsa_user_sgpr_queue_ptr 0
		.amdhsa_user_sgpr_kernarg_segment_ptr 1
		.amdhsa_user_sgpr_dispatch_id 0
		.amdhsa_user_sgpr_private_segment_size 0
		.amdhsa_wavefront_size32 1
		.amdhsa_uses_dynamic_stack 0
		.amdhsa_enable_private_segment 0
		.amdhsa_system_sgpr_workgroup_id_x 1
		.amdhsa_system_sgpr_workgroup_id_y 0
		.amdhsa_system_sgpr_workgroup_id_z 0
		.amdhsa_system_sgpr_workgroup_info 0
		.amdhsa_system_vgpr_workitem_id 2
		.amdhsa_next_free_vgpr 28
		.amdhsa_next_free_sgpr 18
		.amdhsa_reserve_vcc 1
		.amdhsa_float_round_mode_32 0
		.amdhsa_float_round_mode_16_64 0
		.amdhsa_float_denorm_mode_32 3
		.amdhsa_float_denorm_mode_16_64 3
		.amdhsa_dx10_clamp 1
		.amdhsa_ieee_mode 1
		.amdhsa_fp16_overflow 0
		.amdhsa_workgroup_processor_mode 1
		.amdhsa_memory_ordered 1
		.amdhsa_forward_progress 0
		.amdhsa_shared_vgpr_count 0
		.amdhsa_exception_fp_ieee_invalid_op 0
		.amdhsa_exception_fp_denorm_src 0
		.amdhsa_exception_fp_ieee_div_zero 0
		.amdhsa_exception_fp_ieee_overflow 0
		.amdhsa_exception_fp_ieee_underflow 0
		.amdhsa_exception_fp_ieee_inexact 0
		.amdhsa_exception_int_div_zero 0
	.end_amdhsa_kernel
	.section	.text._ZN9rocsparseL22gebsrmvn_mxn_16_kernelILj104ELj13ELj8E21rocsparse_complex_numIdEEEvi20rocsparse_direction_NS_24const_host_device_scalarIT2_EEPKiS8_PKS5_iiSA_S6_PS5_21rocsparse_index_base_b,"axG",@progbits,_ZN9rocsparseL22gebsrmvn_mxn_16_kernelILj104ELj13ELj8E21rocsparse_complex_numIdEEEvi20rocsparse_direction_NS_24const_host_device_scalarIT2_EEPKiS8_PKS5_iiSA_S6_PS5_21rocsparse_index_base_b,comdat
.Lfunc_end109:
	.size	_ZN9rocsparseL22gebsrmvn_mxn_16_kernelILj104ELj13ELj8E21rocsparse_complex_numIdEEEvi20rocsparse_direction_NS_24const_host_device_scalarIT2_EEPKiS8_PKS5_iiSA_S6_PS5_21rocsparse_index_base_b, .Lfunc_end109-_ZN9rocsparseL22gebsrmvn_mxn_16_kernelILj104ELj13ELj8E21rocsparse_complex_numIdEEEvi20rocsparse_direction_NS_24const_host_device_scalarIT2_EEPKiS8_PKS5_iiSA_S6_PS5_21rocsparse_index_base_b
                                        ; -- End function
	.section	.AMDGPU.csdata,"",@progbits
; Kernel info:
; codeLenInByte = 1680
; NumSgprs: 20
; NumVgprs: 28
; ScratchSize: 0
; MemoryBound: 0
; FloatMode: 240
; IeeeMode: 1
; LDSByteSize: 3328 bytes/workgroup (compile time only)
; SGPRBlocks: 2
; VGPRBlocks: 3
; NumSGPRsForWavesPerEU: 20
; NumVGPRsForWavesPerEU: 28
; Occupancy: 16
; WaveLimiterHint : 1
; COMPUTE_PGM_RSRC2:SCRATCH_EN: 0
; COMPUTE_PGM_RSRC2:USER_SGPR: 15
; COMPUTE_PGM_RSRC2:TRAP_HANDLER: 0
; COMPUTE_PGM_RSRC2:TGID_X_EN: 1
; COMPUTE_PGM_RSRC2:TGID_Y_EN: 0
; COMPUTE_PGM_RSRC2:TGID_Z_EN: 0
; COMPUTE_PGM_RSRC2:TIDIG_COMP_CNT: 2
	.section	.text._ZN9rocsparseL23gebsrmvn_general_kernelILj256ELj16E21rocsparse_complex_numIdEEEvi20rocsparse_direction_NS_24const_host_device_scalarIT1_EEPKiS8_PKS5_iiSA_S6_PS5_21rocsparse_index_base_b,"axG",@progbits,_ZN9rocsparseL23gebsrmvn_general_kernelILj256ELj16E21rocsparse_complex_numIdEEEvi20rocsparse_direction_NS_24const_host_device_scalarIT1_EEPKiS8_PKS5_iiSA_S6_PS5_21rocsparse_index_base_b,comdat
	.globl	_ZN9rocsparseL23gebsrmvn_general_kernelILj256ELj16E21rocsparse_complex_numIdEEEvi20rocsparse_direction_NS_24const_host_device_scalarIT1_EEPKiS8_PKS5_iiSA_S6_PS5_21rocsparse_index_base_b ; -- Begin function _ZN9rocsparseL23gebsrmvn_general_kernelILj256ELj16E21rocsparse_complex_numIdEEEvi20rocsparse_direction_NS_24const_host_device_scalarIT1_EEPKiS8_PKS5_iiSA_S6_PS5_21rocsparse_index_base_b
	.p2align	8
	.type	_ZN9rocsparseL23gebsrmvn_general_kernelILj256ELj16E21rocsparse_complex_numIdEEEvi20rocsparse_direction_NS_24const_host_device_scalarIT1_EEPKiS8_PKS5_iiSA_S6_PS5_21rocsparse_index_base_b,@function
_ZN9rocsparseL23gebsrmvn_general_kernelILj256ELj16E21rocsparse_complex_numIdEEEvi20rocsparse_direction_NS_24const_host_device_scalarIT1_EEPKiS8_PKS5_iiSA_S6_PS5_21rocsparse_index_base_b: ; @_ZN9rocsparseL23gebsrmvn_general_kernelILj256ELj16E21rocsparse_complex_numIdEEEvi20rocsparse_direction_NS_24const_host_device_scalarIT1_EEPKiS8_PKS5_iiSA_S6_PS5_21rocsparse_index_base_b
; %bb.0:
	s_mov_b32 s16, s15
	s_clause 0x1
	s_load_b64 s[12:13], s[2:3], 0x58
	s_load_b128 s[8:11], s[2:3], 0x8
	s_load_b64 s[14:15], s[0:1], 0x4
	s_mov_b64 s[0:1], src_shared_base
	v_and_b32_e32 v1, 0x3ff, v0
	s_load_b128 s[4:7], s[2:3], 0x40
	v_bfe_u32 v3, v0, 10, 10
	v_bfe_u32 v0, v0, 20, 10
	s_waitcnt lgkmcnt(0)
	s_bitcmp1_b32 s13, 0
	s_cselect_b32 s0, -1, 0
	s_delay_alu instid0(SALU_CYCLE_1)
	s_and_b32 vcc_lo, s0, exec_lo
	s_cselect_b32 s13, s1, s9
	s_lshr_b32 s14, s14, 16
	v_dual_mov_b32 v4, s4 :: v_dual_mov_b32 v5, s5
	s_mul_i32 s14, s14, s15
	v_mov_b32_e32 v7, s13
	v_mul_lo_u32 v2, s14, v1
	s_delay_alu instid0(VALU_DEP_1) | instskip(NEXT) | instid1(VALU_DEP_1)
	v_mad_u32_u24 v2, v3, s15, v2
	v_add_lshl_u32 v0, v2, v0, 3
	v_dual_mov_b32 v2, s8 :: v_dual_mov_b32 v3, s9
	s_delay_alu instid0(VALU_DEP_2)
	v_add_nc_u32_e32 v6, 0x800, v0
	ds_store_2addr_stride64_b64 v0, v[4:5], v[2:3] offset1:4
	v_cndmask_b32_e64 v6, s8, v6, s0
	flat_load_b64 v[4:5], v[6:7]
	v_dual_mov_b32 v6, s10 :: v_dual_mov_b32 v7, s11
	s_xor_b32 s10, s0, -1
	s_cbranch_vccnz .LBB110_2
; %bb.1:
	v_dual_mov_b32 v2, s8 :: v_dual_mov_b32 v3, s9
	flat_load_b64 v[6:7], v[2:3] offset:8
.LBB110_2:
	s_and_b32 s8, s0, exec_lo
	s_cselect_b32 s1, s1, s5
	v_cndmask_b32_e64 v2, s4, v0, s0
	v_mov_b32_e32 v3, s1
	v_dual_mov_b32 v11, s7 :: v_dual_mov_b32 v10, s6
	s_and_not1_b32 vcc_lo, exec_lo, s10
	flat_load_b64 v[8:9], v[2:3]
	s_cbranch_vccnz .LBB110_4
; %bb.3:
	v_dual_mov_b32 v2, s4 :: v_dual_mov_b32 v3, s5
	flat_load_b64 v[10:11], v[2:3] offset:8
.LBB110_4:
	s_waitcnt vmcnt(1) lgkmcnt(1)
	v_cmp_eq_f64_e32 vcc_lo, 0, v[4:5]
	v_cmp_eq_f64_e64 s0, 0, v[6:7]
	s_delay_alu instid0(VALU_DEP_1)
	s_and_b32 s4, vcc_lo, s0
	s_mov_b32 s0, -1
	s_and_saveexec_b32 s1, s4
	s_cbranch_execz .LBB110_6
; %bb.5:
	s_waitcnt vmcnt(0) lgkmcnt(0)
	v_cmp_neq_f64_e32 vcc_lo, 1.0, v[8:9]
	v_cmp_neq_f64_e64 s0, 0, v[10:11]
	s_delay_alu instid0(VALU_DEP_1) | instskip(NEXT) | instid1(SALU_CYCLE_1)
	s_or_b32 s0, vcc_lo, s0
	s_or_not1_b32 s0, s0, exec_lo
.LBB110_6:
	s_or_b32 exec_lo, exec_lo, s1
	s_and_saveexec_b32 s1, s0
	s_cbranch_execz .LBB110_26
; %bb.7:
	s_load_b64 s[6:7], s[2:3], 0x30
	v_lshrrev_b32_e32 v12, 4, v1
	s_waitcnt lgkmcnt(0)
	s_delay_alu instid0(VALU_DEP_1)
	v_cmp_gt_i32_e32 vcc_lo, s6, v12
	s_and_b32 exec_lo, exec_lo, vcc_lo
	s_cbranch_execz .LBB110_26
; %bb.8:
	s_clause 0x1
	s_load_b128 s[8:11], s[2:3], 0x18
	s_load_b32 s5, s[2:3], 0x4
	s_ashr_i32 s17, s16, 31
	s_waitcnt vmcnt(0)
	v_cmp_eq_f64_e32 vcc_lo, 0, v[8:9]
	s_lshl_b64 s[0:1], s[16:17], 2
	v_cmp_eq_f64_e64 s4, 0, v[10:11]
	v_mbcnt_lo_u32_b32 v2, -1, 0
	v_and_b32_e32 v17, 15, v1
	s_mov_b32 s13, 0
	s_mul_i32 s16, s16, s6
	s_mul_i32 s23, s7, s6
	v_xor_b32_e32 v0, 8, v2
	v_xor_b32_e32 v1, 4, v2
	;; [unrolled: 1-line block ×4, first 2 shown]
	s_waitcnt lgkmcnt(0)
	s_add_u32 s0, s8, s0
	s_addc_u32 s1, s9, s1
	s_load_b64 s[20:21], s[0:1], 0x0
	s_load_b64 s[8:9], s[2:3], 0x28
	v_cmp_gt_i32_e64 s1, 32, v0
	s_clause 0x1
	s_load_b64 s[14:15], s[2:3], 0x50
	s_load_b64 s[2:3], s[2:3], 0x38
	v_cmp_gt_i32_e64 s0, s7, v17
	v_cndmask_b32_e64 v14, v2, v0, s1
	v_cmp_gt_i32_e64 s1, 32, v1
	s_delay_alu instid0(VALU_DEP_2) | instskip(NEXT) | instid1(VALU_DEP_2)
	v_lshlrev_b32_e32 v18, 2, v14
	v_cndmask_b32_e64 v15, v2, v1, s1
	v_cmp_gt_i32_e64 s1, 32, v3
	s_delay_alu instid0(VALU_DEP_2) | instskip(NEXT) | instid1(VALU_DEP_2)
	v_lshlrev_b32_e32 v19, 2, v15
	v_cndmask_b32_e64 v3, v2, v3, s1
	s_waitcnt lgkmcnt(0)
	s_sub_i32 s17, s20, s12
	v_cmp_gt_i32_e64 s1, 32, v13
	v_mad_u64_u32 v[0:1], null, s6, s17, v[12:13]
	s_sub_i32 s18, s21, s12
	s_cmp_lt_i32 s20, s21
	s_delay_alu instid0(VALU_DEP_2) | instskip(SKIP_3) | instid1(VALU_DEP_4)
	v_cndmask_b32_e64 v1, v2, v13, s1
	v_lshlrev_b32_e32 v20, 2, v3
	v_cmp_eq_u32_e64 s1, 15, v17
	s_cselect_b32 s19, -1, 0
	v_mul_lo_u32 v22, s7, v0
	v_lshlrev_b32_e32 v21, 2, v1
	s_cmp_lg_u32 s5, 0
	s_cselect_b32 s20, -1, 0
	s_and_b32 s21, vcc_lo, s4
	s_lshl_b32 s22, s7, 4
	s_branch .LBB110_10
.LBB110_9:                              ;   in Loop: Header=BB110_10 Depth=1
	s_or_b32 exec_lo, exec_lo, s4
	v_add_nc_u32_e32 v12, 16, v12
	v_add_nc_u32_e32 v22, s22, v22
	s_delay_alu instid0(VALU_DEP_2) | instskip(SKIP_1) | instid1(SALU_CYCLE_1)
	v_cmp_le_i32_e32 vcc_lo, s6, v12
	s_or_b32 s13, vcc_lo, s13
	s_and_not1_b32 exec_lo, exec_lo, s13
	s_cbranch_execz .LBB110_26
.LBB110_10:                             ; =>This Loop Header: Depth=1
                                        ;     Child Loop BB110_14 Depth 2
                                        ;       Child Loop BB110_17 Depth 3
	v_mov_b32_e32 v0, 0
	v_mov_b32_e32 v1, 0
	s_and_not1_b32 vcc_lo, exec_lo, s19
	s_delay_alu instid0(VALU_DEP_1)
	v_dual_mov_b32 v3, v1 :: v_dual_mov_b32 v2, v0
	s_cbranch_vccnz .LBB110_21
; %bb.11:                               ;   in Loop: Header=BB110_10 Depth=1
	s_waitcnt lgkmcnt(1)
	v_dual_mov_b32 v0, 0 :: v_dual_mov_b32 v15, v22
	v_mov_b32_e32 v1, 0
	s_mov_b32 s4, s17
	s_delay_alu instid0(VALU_DEP_1)
	v_dual_mov_b32 v3, v1 :: v_dual_mov_b32 v2, v0
	s_branch .LBB110_14
.LBB110_12:                             ;   in Loop: Header=BB110_14 Depth=2
	s_set_inst_prefetch_distance 0x2
	s_or_b32 exec_lo, exec_lo, s25
.LBB110_13:                             ;   in Loop: Header=BB110_14 Depth=2
	s_delay_alu instid0(SALU_CYCLE_1) | instskip(SKIP_2) | instid1(SALU_CYCLE_1)
	s_or_b32 exec_lo, exec_lo, s24
	v_add_nc_u32_e32 v15, s23, v15
	s_add_i32 s4, s4, 1
	s_cmp_ge_i32 s4, s18
	s_cbranch_scc1 .LBB110_21
.LBB110_14:                             ;   Parent Loop BB110_10 Depth=1
                                        ; =>  This Loop Header: Depth=2
                                        ;       Child Loop BB110_17 Depth 3
	s_and_saveexec_b32 s24, s0
	s_cbranch_execz .LBB110_13
; %bb.15:                               ;   in Loop: Header=BB110_14 Depth=2
	s_ashr_i32 s5, s4, 31
	s_waitcnt lgkmcnt(0)
	v_mov_b32_e32 v16, v17
	s_lshl_b64 s[26:27], s[4:5], 2
	s_mov_b32 s25, 0
	s_add_u32 s26, s10, s26
	s_addc_u32 s27, s11, s27
	s_load_b32 s5, s[26:27], 0x0
	s_waitcnt lgkmcnt(0)
	s_sub_i32 s26, s5, s12
	s_mul_i32 s5, s4, s7
	s_mul_i32 s26, s26, s7
	s_set_inst_prefetch_distance 0x1
	s_branch .LBB110_17
	.p2align	6
.LBB110_16:                             ;   in Loop: Header=BB110_17 Depth=3
	v_add_nc_u32_e32 v23, s26, v16
	s_delay_alu instid0(VALU_DEP_2) | instskip(SKIP_1) | instid1(VALU_DEP_3)
	v_ashrrev_i32_e32 v14, 31, v13
	v_add_nc_u32_e32 v16, 16, v16
	v_ashrrev_i32_e32 v24, 31, v23
	s_delay_alu instid0(VALU_DEP_3) | instskip(NEXT) | instid1(VALU_DEP_2)
	v_lshlrev_b64 v[13:14], 4, v[13:14]
	v_lshlrev_b64 v[23:24], 4, v[23:24]
	s_delay_alu instid0(VALU_DEP_2) | instskip(NEXT) | instid1(VALU_DEP_3)
	v_add_co_u32 v13, vcc_lo, s8, v13
	v_add_co_ci_u32_e32 v14, vcc_lo, s9, v14, vcc_lo
	s_delay_alu instid0(VALU_DEP_3) | instskip(NEXT) | instid1(VALU_DEP_4)
	v_add_co_u32 v27, vcc_lo, s2, v23
	v_add_co_ci_u32_e32 v28, vcc_lo, s3, v24, vcc_lo
	v_cmp_le_i32_e32 vcc_lo, s7, v16
	global_load_b128 v[23:26], v[13:14], off
	global_load_b128 v[27:30], v[27:28], off
	s_or_b32 s25, vcc_lo, s25
	s_waitcnt vmcnt(0)
	v_fma_f64 v[2:3], v[23:24], v[27:28], v[2:3]
	v_fma_f64 v[0:1], v[25:26], v[27:28], v[0:1]
	s_delay_alu instid0(VALU_DEP_2) | instskip(NEXT) | instid1(VALU_DEP_2)
	v_fma_f64 v[2:3], -v[25:26], v[29:30], v[2:3]
	v_fma_f64 v[0:1], v[23:24], v[29:30], v[0:1]
	s_and_not1_b32 exec_lo, exec_lo, s25
	s_cbranch_execz .LBB110_12
.LBB110_17:                             ;   Parent Loop BB110_10 Depth=1
                                        ;     Parent Loop BB110_14 Depth=2
                                        ; =>    This Inner Loop Header: Depth=3
	s_and_b32 vcc_lo, exec_lo, s20
	s_cbranch_vccz .LBB110_19
; %bb.18:                               ;   in Loop: Header=BB110_17 Depth=3
	v_add_nc_u32_e32 v23, s5, v16
	s_delay_alu instid0(VALU_DEP_1)
	v_mad_u64_u32 v[13:14], null, v23, s6, v[12:13]
	s_cbranch_execnz .LBB110_16
	s_branch .LBB110_20
.LBB110_19:                             ;   in Loop: Header=BB110_17 Depth=3
                                        ; implicit-def: $vgpr13
.LBB110_20:                             ;   in Loop: Header=BB110_17 Depth=3
	v_add_nc_u32_e32 v13, v15, v16
	s_branch .LBB110_16
.LBB110_21:                             ;   in Loop: Header=BB110_10 Depth=1
	s_waitcnt lgkmcnt(3)
	ds_bpermute_b32 v13, v18, v2
	s_waitcnt lgkmcnt(3)
	ds_bpermute_b32 v14, v18, v3
	;; [unrolled: 2-line block ×4, first 2 shown]
	s_waitcnt lgkmcnt(2)
	v_add_f64 v[2:3], v[2:3], v[13:14]
	s_waitcnt lgkmcnt(0)
	v_add_f64 v[0:1], v[0:1], v[15:16]
	ds_bpermute_b32 v13, v19, v2
	ds_bpermute_b32 v14, v19, v3
	ds_bpermute_b32 v15, v19, v0
	ds_bpermute_b32 v16, v19, v1
	s_waitcnt lgkmcnt(2)
	v_add_f64 v[2:3], v[2:3], v[13:14]
	s_waitcnt lgkmcnt(0)
	v_add_f64 v[13:14], v[0:1], v[15:16]
	ds_bpermute_b32 v0, v20, v2
	ds_bpermute_b32 v1, v20, v3
	ds_bpermute_b32 v15, v20, v13
	ds_bpermute_b32 v16, v20, v14
	;; [unrolled: 8-line block ×3, first 2 shown]
	s_and_saveexec_b32 s4, s1
	s_cbranch_execz .LBB110_9
; %bb.22:                               ;   in Loop: Header=BB110_10 Depth=1
	s_waitcnt lgkmcnt(0)
	v_add_f64 v[2:3], v[2:3], v[15:16]
	v_add_f64 v[13:14], v[0:1], v[13:14]
	s_delay_alu instid0(VALU_DEP_2) | instskip(SKIP_1) | instid1(VALU_DEP_2)
	v_mul_f64 v[0:1], v[2:3], -v[6:7]
	v_mul_f64 v[2:3], v[4:5], v[2:3]
	v_fma_f64 v[0:1], v[4:5], v[13:14], v[0:1]
	s_delay_alu instid0(VALU_DEP_2) | instskip(SKIP_1) | instid1(VALU_DEP_1)
	v_fma_f64 v[2:3], v[6:7], v[13:14], v[2:3]
	v_add_nc_u32_e32 v13, s16, v12
	v_ashrrev_i32_e32 v14, 31, v13
	s_and_saveexec_b32 s5, s21
	s_delay_alu instid0(SALU_CYCLE_1)
	s_xor_b32 s5, exec_lo, s5
	s_cbranch_execz .LBB110_24
; %bb.23:                               ;   in Loop: Header=BB110_10 Depth=1
	s_delay_alu instid0(VALU_DEP_1) | instskip(NEXT) | instid1(VALU_DEP_1)
	v_lshlrev_b64 v[13:14], 4, v[13:14]
	v_add_co_u32 v13, vcc_lo, s14, v13
	s_delay_alu instid0(VALU_DEP_2)
	v_add_co_ci_u32_e32 v14, vcc_lo, s15, v14, vcc_lo
	global_store_b128 v[13:14], v[0:3], off
                                        ; implicit-def: $vgpr13
                                        ; implicit-def: $vgpr0_vgpr1
.LBB110_24:                             ;   in Loop: Header=BB110_10 Depth=1
	s_and_not1_saveexec_b32 s5, s5
	s_cbranch_execz .LBB110_9
; %bb.25:                               ;   in Loop: Header=BB110_10 Depth=1
	v_lshlrev_b64 v[13:14], 4, v[13:14]
	s_delay_alu instid0(VALU_DEP_1) | instskip(NEXT) | instid1(VALU_DEP_2)
	v_add_co_u32 v23, vcc_lo, s14, v13
	v_add_co_ci_u32_e32 v24, vcc_lo, s15, v14, vcc_lo
	global_load_b128 v[13:16], v[23:24], off
	s_waitcnt vmcnt(0)
	v_fma_f64 v[0:1], v[8:9], v[13:14], v[0:1]
	v_fma_f64 v[2:3], v[10:11], v[13:14], v[2:3]
	s_delay_alu instid0(VALU_DEP_2) | instskip(NEXT) | instid1(VALU_DEP_2)
	v_fma_f64 v[0:1], -v[10:11], v[15:16], v[0:1]
	v_fma_f64 v[2:3], v[8:9], v[15:16], v[2:3]
	global_store_b128 v[23:24], v[0:3], off
	s_branch .LBB110_9
.LBB110_26:
	s_nop 0
	s_sendmsg sendmsg(MSG_DEALLOC_VGPRS)
	s_endpgm
	.section	.rodata,"a",@progbits
	.p2align	6, 0x0
	.amdhsa_kernel _ZN9rocsparseL23gebsrmvn_general_kernelILj256ELj16E21rocsparse_complex_numIdEEEvi20rocsparse_direction_NS_24const_host_device_scalarIT1_EEPKiS8_PKS5_iiSA_S6_PS5_21rocsparse_index_base_b
		.amdhsa_group_segment_fixed_size 4096
		.amdhsa_private_segment_fixed_size 0
		.amdhsa_kernarg_size 96
		.amdhsa_user_sgpr_count 15
		.amdhsa_user_sgpr_dispatch_ptr 1
		.amdhsa_user_sgpr_queue_ptr 0
		.amdhsa_user_sgpr_kernarg_segment_ptr 1
		.amdhsa_user_sgpr_dispatch_id 0
		.amdhsa_user_sgpr_private_segment_size 0
		.amdhsa_wavefront_size32 1
		.amdhsa_uses_dynamic_stack 0
		.amdhsa_enable_private_segment 0
		.amdhsa_system_sgpr_workgroup_id_x 1
		.amdhsa_system_sgpr_workgroup_id_y 0
		.amdhsa_system_sgpr_workgroup_id_z 0
		.amdhsa_system_sgpr_workgroup_info 0
		.amdhsa_system_vgpr_workitem_id 2
		.amdhsa_next_free_vgpr 31
		.amdhsa_next_free_sgpr 28
		.amdhsa_reserve_vcc 1
		.amdhsa_float_round_mode_32 0
		.amdhsa_float_round_mode_16_64 0
		.amdhsa_float_denorm_mode_32 3
		.amdhsa_float_denorm_mode_16_64 3
		.amdhsa_dx10_clamp 1
		.amdhsa_ieee_mode 1
		.amdhsa_fp16_overflow 0
		.amdhsa_workgroup_processor_mode 1
		.amdhsa_memory_ordered 1
		.amdhsa_forward_progress 0
		.amdhsa_shared_vgpr_count 0
		.amdhsa_exception_fp_ieee_invalid_op 0
		.amdhsa_exception_fp_denorm_src 0
		.amdhsa_exception_fp_ieee_div_zero 0
		.amdhsa_exception_fp_ieee_overflow 0
		.amdhsa_exception_fp_ieee_underflow 0
		.amdhsa_exception_fp_ieee_inexact 0
		.amdhsa_exception_int_div_zero 0
	.end_amdhsa_kernel
	.section	.text._ZN9rocsparseL23gebsrmvn_general_kernelILj256ELj16E21rocsparse_complex_numIdEEEvi20rocsparse_direction_NS_24const_host_device_scalarIT1_EEPKiS8_PKS5_iiSA_S6_PS5_21rocsparse_index_base_b,"axG",@progbits,_ZN9rocsparseL23gebsrmvn_general_kernelILj256ELj16E21rocsparse_complex_numIdEEEvi20rocsparse_direction_NS_24const_host_device_scalarIT1_EEPKiS8_PKS5_iiSA_S6_PS5_21rocsparse_index_base_b,comdat
.Lfunc_end110:
	.size	_ZN9rocsparseL23gebsrmvn_general_kernelILj256ELj16E21rocsparse_complex_numIdEEEvi20rocsparse_direction_NS_24const_host_device_scalarIT1_EEPKiS8_PKS5_iiSA_S6_PS5_21rocsparse_index_base_b, .Lfunc_end110-_ZN9rocsparseL23gebsrmvn_general_kernelILj256ELj16E21rocsparse_complex_numIdEEEvi20rocsparse_direction_NS_24const_host_device_scalarIT1_EEPKiS8_PKS5_iiSA_S6_PS5_21rocsparse_index_base_b
                                        ; -- End function
	.section	.AMDGPU.csdata,"",@progbits
; Kernel info:
; codeLenInByte = 1508
; NumSgprs: 30
; NumVgprs: 31
; ScratchSize: 0
; MemoryBound: 0
; FloatMode: 240
; IeeeMode: 1
; LDSByteSize: 4096 bytes/workgroup (compile time only)
; SGPRBlocks: 3
; VGPRBlocks: 3
; NumSGPRsForWavesPerEU: 30
; NumVGPRsForWavesPerEU: 31
; Occupancy: 16
; WaveLimiterHint : 1
; COMPUTE_PGM_RSRC2:SCRATCH_EN: 0
; COMPUTE_PGM_RSRC2:USER_SGPR: 15
; COMPUTE_PGM_RSRC2:TRAP_HANDLER: 0
; COMPUTE_PGM_RSRC2:TGID_X_EN: 1
; COMPUTE_PGM_RSRC2:TGID_Y_EN: 0
; COMPUTE_PGM_RSRC2:TGID_Z_EN: 0
; COMPUTE_PGM_RSRC2:TIDIG_COMP_CNT: 2
	.section	.text._ZN9rocsparseL23gebsrmvn_general_kernelILj512ELj32E21rocsparse_complex_numIdEEEvi20rocsparse_direction_NS_24const_host_device_scalarIT1_EEPKiS8_PKS5_iiSA_S6_PS5_21rocsparse_index_base_b,"axG",@progbits,_ZN9rocsparseL23gebsrmvn_general_kernelILj512ELj32E21rocsparse_complex_numIdEEEvi20rocsparse_direction_NS_24const_host_device_scalarIT1_EEPKiS8_PKS5_iiSA_S6_PS5_21rocsparse_index_base_b,comdat
	.globl	_ZN9rocsparseL23gebsrmvn_general_kernelILj512ELj32E21rocsparse_complex_numIdEEEvi20rocsparse_direction_NS_24const_host_device_scalarIT1_EEPKiS8_PKS5_iiSA_S6_PS5_21rocsparse_index_base_b ; -- Begin function _ZN9rocsparseL23gebsrmvn_general_kernelILj512ELj32E21rocsparse_complex_numIdEEEvi20rocsparse_direction_NS_24const_host_device_scalarIT1_EEPKiS8_PKS5_iiSA_S6_PS5_21rocsparse_index_base_b
	.p2align	8
	.type	_ZN9rocsparseL23gebsrmvn_general_kernelILj512ELj32E21rocsparse_complex_numIdEEEvi20rocsparse_direction_NS_24const_host_device_scalarIT1_EEPKiS8_PKS5_iiSA_S6_PS5_21rocsparse_index_base_b,@function
_ZN9rocsparseL23gebsrmvn_general_kernelILj512ELj32E21rocsparse_complex_numIdEEEvi20rocsparse_direction_NS_24const_host_device_scalarIT1_EEPKiS8_PKS5_iiSA_S6_PS5_21rocsparse_index_base_b: ; @_ZN9rocsparseL23gebsrmvn_general_kernelILj512ELj32E21rocsparse_complex_numIdEEEvi20rocsparse_direction_NS_24const_host_device_scalarIT1_EEPKiS8_PKS5_iiSA_S6_PS5_21rocsparse_index_base_b
; %bb.0:
	s_mov_b32 s16, s15
	s_clause 0x1
	s_load_b64 s[12:13], s[2:3], 0x58
	s_load_b128 s[8:11], s[2:3], 0x8
	s_load_b64 s[14:15], s[0:1], 0x4
	s_mov_b64 s[0:1], src_shared_base
	v_and_b32_e32 v1, 0x3ff, v0
	s_load_b128 s[4:7], s[2:3], 0x40
	v_bfe_u32 v3, v0, 10, 10
	v_bfe_u32 v0, v0, 20, 10
	s_waitcnt lgkmcnt(0)
	s_bitcmp1_b32 s13, 0
	s_cselect_b32 s0, -1, 0
	s_delay_alu instid0(SALU_CYCLE_1)
	s_and_b32 vcc_lo, s0, exec_lo
	s_cselect_b32 s13, s1, s9
	s_lshr_b32 s14, s14, 16
	v_dual_mov_b32 v4, s4 :: v_dual_mov_b32 v5, s5
	s_mul_i32 s14, s14, s15
	v_mov_b32_e32 v7, s13
	v_mul_lo_u32 v2, s14, v1
	s_delay_alu instid0(VALU_DEP_1) | instskip(NEXT) | instid1(VALU_DEP_1)
	v_mad_u32_u24 v2, v3, s15, v2
	v_add_lshl_u32 v0, v2, v0, 3
	v_dual_mov_b32 v2, s8 :: v_dual_mov_b32 v3, s9
	s_delay_alu instid0(VALU_DEP_2)
	v_add_nc_u32_e32 v6, 0x1000, v0
	ds_store_2addr_stride64_b64 v0, v[4:5], v[2:3] offset1:8
	v_cndmask_b32_e64 v6, s8, v6, s0
	flat_load_b64 v[4:5], v[6:7]
	v_dual_mov_b32 v6, s10 :: v_dual_mov_b32 v7, s11
	s_xor_b32 s10, s0, -1
	s_cbranch_vccnz .LBB111_2
; %bb.1:
	v_dual_mov_b32 v2, s8 :: v_dual_mov_b32 v3, s9
	flat_load_b64 v[6:7], v[2:3] offset:8
.LBB111_2:
	s_and_b32 s8, s0, exec_lo
	s_cselect_b32 s1, s1, s5
	v_cndmask_b32_e64 v2, s4, v0, s0
	v_mov_b32_e32 v3, s1
	v_dual_mov_b32 v11, s7 :: v_dual_mov_b32 v10, s6
	s_and_not1_b32 vcc_lo, exec_lo, s10
	flat_load_b64 v[8:9], v[2:3]
	s_cbranch_vccnz .LBB111_4
; %bb.3:
	v_dual_mov_b32 v2, s4 :: v_dual_mov_b32 v3, s5
	flat_load_b64 v[10:11], v[2:3] offset:8
.LBB111_4:
	s_waitcnt vmcnt(1) lgkmcnt(1)
	v_cmp_eq_f64_e32 vcc_lo, 0, v[4:5]
	v_cmp_eq_f64_e64 s0, 0, v[6:7]
	s_delay_alu instid0(VALU_DEP_1)
	s_and_b32 s4, vcc_lo, s0
	s_mov_b32 s0, -1
	s_and_saveexec_b32 s1, s4
	s_cbranch_execz .LBB111_6
; %bb.5:
	s_waitcnt vmcnt(0) lgkmcnt(0)
	v_cmp_neq_f64_e32 vcc_lo, 1.0, v[8:9]
	v_cmp_neq_f64_e64 s0, 0, v[10:11]
	s_delay_alu instid0(VALU_DEP_1) | instskip(NEXT) | instid1(SALU_CYCLE_1)
	s_or_b32 s0, vcc_lo, s0
	s_or_not1_b32 s0, s0, exec_lo
.LBB111_6:
	s_or_b32 exec_lo, exec_lo, s1
	s_and_saveexec_b32 s1, s0
	s_cbranch_execz .LBB111_26
; %bb.7:
	s_load_b64 s[8:9], s[2:3], 0x30
	v_lshrrev_b32_e32 v12, 5, v1
	s_waitcnt lgkmcnt(0)
	s_delay_alu instid0(VALU_DEP_1)
	v_cmp_gt_i32_e32 vcc_lo, s8, v12
	s_and_b32 exec_lo, exec_lo, vcc_lo
	s_cbranch_execz .LBB111_26
; %bb.8:
	s_clause 0x1
	s_load_b128 s[4:7], s[2:3], 0x18
	s_load_b64 s[10:11], s[2:3], 0x28
	v_mbcnt_lo_u32_b32 v2, -1, 0
	s_ashr_i32 s17, s16, 31
	v_and_b32_e32 v17, 31, v1
	s_lshl_b64 s[0:1], s[16:17], 2
	s_waitcnt vmcnt(0)
	v_cmp_eq_f64_e32 vcc_lo, 0, v[8:9]
	v_xor_b32_e32 v0, 16, v2
	v_xor_b32_e32 v1, 8, v2
	;; [unrolled: 1-line block ×4, first 2 shown]
	s_load_b32 s22, s[2:3], 0x4
	v_xor_b32_e32 v14, 1, v2
	s_mov_b32 s13, 0
	s_mul_i32 s16, s16, s8
	s_mul_i32 s23, s9, s8
	s_waitcnt lgkmcnt(0)
	s_add_u32 s0, s4, s0
	s_addc_u32 s1, s5, s1
	v_cmp_eq_f64_e64 s4, 0, v[10:11]
	s_load_b64 s[20:21], s[0:1], 0x0
	v_cmp_gt_i32_e64 s1, 32, v0
	s_clause 0x1
	s_load_b64 s[14:15], s[2:3], 0x50
	s_load_b64 s[2:3], s[2:3], 0x38
	v_cmp_gt_i32_e64 s0, s9, v17
	v_cndmask_b32_e64 v15, v2, v0, s1
	v_cmp_gt_i32_e64 s1, 32, v1
	s_delay_alu instid0(VALU_DEP_2) | instskip(NEXT) | instid1(VALU_DEP_2)
	v_lshlrev_b32_e32 v18, 2, v15
	v_cndmask_b32_e64 v16, v2, v1, s1
	v_cmp_gt_i32_e64 s1, 32, v3
	s_delay_alu instid0(VALU_DEP_2) | instskip(NEXT) | instid1(VALU_DEP_2)
	v_lshlrev_b32_e32 v19, 2, v16
	v_cndmask_b32_e64 v3, v2, v3, s1
	v_cmp_gt_i32_e64 s1, 32, v13
	s_waitcnt lgkmcnt(0)
	s_sub_i32 s17, s20, s12
	s_sub_i32 s18, s21, s12
	s_cmp_lt_i32 s20, s21
	v_lshlrev_b32_e32 v20, 2, v3
	v_cndmask_b32_e64 v13, v2, v13, s1
	v_cmp_gt_i32_e64 s1, 32, v14
	s_cselect_b32 s19, -1, 0
	s_cmp_lg_u32 s22, 0
	s_delay_alu instid0(VALU_DEP_2) | instskip(NEXT) | instid1(VALU_DEP_2)
	v_mad_u64_u32 v[0:1], null, s8, s17, v[12:13]
	v_cndmask_b32_e64 v1, v2, v14, s1
	v_lshlrev_b32_e32 v21, 2, v13
	v_cmp_eq_u32_e64 s1, 31, v17
	s_cselect_b32 s20, -1, 0
	s_lshl_b32 s22, s9, 4
	v_lshlrev_b32_e32 v22, 2, v1
	v_mul_lo_u32 v23, s9, v0
	s_and_b32 s21, vcc_lo, s4
	s_branch .LBB111_10
.LBB111_9:                              ;   in Loop: Header=BB111_10 Depth=1
	s_or_b32 exec_lo, exec_lo, s4
	v_add_nc_u32_e32 v12, 16, v12
	v_add_nc_u32_e32 v23, s22, v23
	s_delay_alu instid0(VALU_DEP_2) | instskip(SKIP_1) | instid1(SALU_CYCLE_1)
	v_cmp_le_i32_e32 vcc_lo, s8, v12
	s_or_b32 s13, vcc_lo, s13
	s_and_not1_b32 exec_lo, exec_lo, s13
	s_cbranch_execz .LBB111_26
.LBB111_10:                             ; =>This Loop Header: Depth=1
                                        ;     Child Loop BB111_14 Depth 2
                                        ;       Child Loop BB111_17 Depth 3
	v_mov_b32_e32 v0, 0
	v_mov_b32_e32 v1, 0
	s_and_not1_b32 vcc_lo, exec_lo, s19
	s_delay_alu instid0(VALU_DEP_1)
	v_dual_mov_b32 v3, v1 :: v_dual_mov_b32 v2, v0
	s_cbranch_vccnz .LBB111_21
; %bb.11:                               ;   in Loop: Header=BB111_10 Depth=1
	s_waitcnt lgkmcnt(1)
	v_dual_mov_b32 v0, 0 :: v_dual_mov_b32 v15, v23
	v_mov_b32_e32 v1, 0
	s_mov_b32 s4, s17
	s_delay_alu instid0(VALU_DEP_1)
	v_dual_mov_b32 v3, v1 :: v_dual_mov_b32 v2, v0
	s_branch .LBB111_14
.LBB111_12:                             ;   in Loop: Header=BB111_14 Depth=2
	s_set_inst_prefetch_distance 0x2
	s_or_b32 exec_lo, exec_lo, s25
.LBB111_13:                             ;   in Loop: Header=BB111_14 Depth=2
	s_delay_alu instid0(SALU_CYCLE_1) | instskip(SKIP_2) | instid1(SALU_CYCLE_1)
	s_or_b32 exec_lo, exec_lo, s24
	v_add_nc_u32_e32 v15, s23, v15
	s_add_i32 s4, s4, 1
	s_cmp_ge_i32 s4, s18
	s_cbranch_scc1 .LBB111_21
.LBB111_14:                             ;   Parent Loop BB111_10 Depth=1
                                        ; =>  This Loop Header: Depth=2
                                        ;       Child Loop BB111_17 Depth 3
	s_and_saveexec_b32 s24, s0
	s_cbranch_execz .LBB111_13
; %bb.15:                               ;   in Loop: Header=BB111_14 Depth=2
	s_ashr_i32 s5, s4, 31
	s_waitcnt lgkmcnt(0)
	v_mov_b32_e32 v16, v17
	s_lshl_b64 s[26:27], s[4:5], 2
	s_mov_b32 s25, 0
	s_add_u32 s26, s6, s26
	s_addc_u32 s27, s7, s27
	s_load_b32 s5, s[26:27], 0x0
	s_waitcnt lgkmcnt(0)
	s_sub_i32 s26, s5, s12
	s_mul_i32 s5, s4, s9
	s_mul_i32 s26, s26, s9
	s_set_inst_prefetch_distance 0x1
	s_branch .LBB111_17
	.p2align	6
.LBB111_16:                             ;   in Loop: Header=BB111_17 Depth=3
	v_add_nc_u32_e32 v24, s26, v16
	s_delay_alu instid0(VALU_DEP_2) | instskip(SKIP_1) | instid1(VALU_DEP_3)
	v_ashrrev_i32_e32 v14, 31, v13
	v_add_nc_u32_e32 v16, 32, v16
	v_ashrrev_i32_e32 v25, 31, v24
	s_delay_alu instid0(VALU_DEP_3) | instskip(NEXT) | instid1(VALU_DEP_2)
	v_lshlrev_b64 v[13:14], 4, v[13:14]
	v_lshlrev_b64 v[24:25], 4, v[24:25]
	s_delay_alu instid0(VALU_DEP_2) | instskip(NEXT) | instid1(VALU_DEP_3)
	v_add_co_u32 v13, vcc_lo, s10, v13
	v_add_co_ci_u32_e32 v14, vcc_lo, s11, v14, vcc_lo
	s_delay_alu instid0(VALU_DEP_3) | instskip(NEXT) | instid1(VALU_DEP_4)
	v_add_co_u32 v28, vcc_lo, s2, v24
	v_add_co_ci_u32_e32 v29, vcc_lo, s3, v25, vcc_lo
	v_cmp_le_i32_e32 vcc_lo, s9, v16
	global_load_b128 v[24:27], v[13:14], off
	global_load_b128 v[28:31], v[28:29], off
	s_or_b32 s25, vcc_lo, s25
	s_waitcnt vmcnt(0)
	v_fma_f64 v[2:3], v[24:25], v[28:29], v[2:3]
	v_fma_f64 v[0:1], v[26:27], v[28:29], v[0:1]
	s_delay_alu instid0(VALU_DEP_2) | instskip(NEXT) | instid1(VALU_DEP_2)
	v_fma_f64 v[2:3], -v[26:27], v[30:31], v[2:3]
	v_fma_f64 v[0:1], v[24:25], v[30:31], v[0:1]
	s_and_not1_b32 exec_lo, exec_lo, s25
	s_cbranch_execz .LBB111_12
.LBB111_17:                             ;   Parent Loop BB111_10 Depth=1
                                        ;     Parent Loop BB111_14 Depth=2
                                        ; =>    This Inner Loop Header: Depth=3
	s_and_b32 vcc_lo, exec_lo, s20
	s_cbranch_vccz .LBB111_19
; %bb.18:                               ;   in Loop: Header=BB111_17 Depth=3
	v_add_nc_u32_e32 v24, s5, v16
	s_delay_alu instid0(VALU_DEP_1)
	v_mad_u64_u32 v[13:14], null, v24, s8, v[12:13]
	s_cbranch_execnz .LBB111_16
	s_branch .LBB111_20
.LBB111_19:                             ;   in Loop: Header=BB111_17 Depth=3
                                        ; implicit-def: $vgpr13
.LBB111_20:                             ;   in Loop: Header=BB111_17 Depth=3
	v_add_nc_u32_e32 v13, v15, v16
	s_branch .LBB111_16
.LBB111_21:                             ;   in Loop: Header=BB111_10 Depth=1
	s_waitcnt lgkmcnt(3)
	ds_bpermute_b32 v13, v18, v2
	s_waitcnt lgkmcnt(3)
	ds_bpermute_b32 v14, v18, v3
	;; [unrolled: 2-line block ×4, first 2 shown]
	s_waitcnt lgkmcnt(2)
	v_add_f64 v[2:3], v[2:3], v[13:14]
	s_waitcnt lgkmcnt(0)
	v_add_f64 v[0:1], v[0:1], v[15:16]
	ds_bpermute_b32 v13, v19, v2
	ds_bpermute_b32 v14, v19, v3
	ds_bpermute_b32 v15, v19, v0
	ds_bpermute_b32 v16, v19, v1
	s_waitcnt lgkmcnt(2)
	v_add_f64 v[2:3], v[2:3], v[13:14]
	s_waitcnt lgkmcnt(0)
	v_add_f64 v[0:1], v[0:1], v[15:16]
	ds_bpermute_b32 v13, v20, v2
	ds_bpermute_b32 v14, v20, v3
	ds_bpermute_b32 v15, v20, v0
	ds_bpermute_b32 v16, v20, v1
	;; [unrolled: 8-line block ×4, first 2 shown]
	s_and_saveexec_b32 s4, s1
	s_cbranch_execz .LBB111_9
; %bb.22:                               ;   in Loop: Header=BB111_10 Depth=1
	s_waitcnt lgkmcnt(0)
	v_add_f64 v[2:3], v[2:3], v[15:16]
	v_add_f64 v[13:14], v[0:1], v[13:14]
	s_delay_alu instid0(VALU_DEP_2) | instskip(SKIP_1) | instid1(VALU_DEP_2)
	v_mul_f64 v[0:1], v[2:3], -v[6:7]
	v_mul_f64 v[2:3], v[4:5], v[2:3]
	v_fma_f64 v[0:1], v[4:5], v[13:14], v[0:1]
	s_delay_alu instid0(VALU_DEP_2) | instskip(SKIP_1) | instid1(VALU_DEP_1)
	v_fma_f64 v[2:3], v[6:7], v[13:14], v[2:3]
	v_add_nc_u32_e32 v13, s16, v12
	v_ashrrev_i32_e32 v14, 31, v13
	s_and_saveexec_b32 s5, s21
	s_delay_alu instid0(SALU_CYCLE_1)
	s_xor_b32 s5, exec_lo, s5
	s_cbranch_execz .LBB111_24
; %bb.23:                               ;   in Loop: Header=BB111_10 Depth=1
	s_delay_alu instid0(VALU_DEP_1) | instskip(NEXT) | instid1(VALU_DEP_1)
	v_lshlrev_b64 v[13:14], 4, v[13:14]
	v_add_co_u32 v13, vcc_lo, s14, v13
	s_delay_alu instid0(VALU_DEP_2)
	v_add_co_ci_u32_e32 v14, vcc_lo, s15, v14, vcc_lo
	global_store_b128 v[13:14], v[0:3], off
                                        ; implicit-def: $vgpr13
                                        ; implicit-def: $vgpr0_vgpr1
.LBB111_24:                             ;   in Loop: Header=BB111_10 Depth=1
	s_and_not1_saveexec_b32 s5, s5
	s_cbranch_execz .LBB111_9
; %bb.25:                               ;   in Loop: Header=BB111_10 Depth=1
	v_lshlrev_b64 v[13:14], 4, v[13:14]
	s_delay_alu instid0(VALU_DEP_1) | instskip(NEXT) | instid1(VALU_DEP_2)
	v_add_co_u32 v24, vcc_lo, s14, v13
	v_add_co_ci_u32_e32 v25, vcc_lo, s15, v14, vcc_lo
	global_load_b128 v[13:16], v[24:25], off
	s_waitcnt vmcnt(0)
	v_fma_f64 v[0:1], v[8:9], v[13:14], v[0:1]
	v_fma_f64 v[2:3], v[10:11], v[13:14], v[2:3]
	s_delay_alu instid0(VALU_DEP_2) | instskip(NEXT) | instid1(VALU_DEP_2)
	v_fma_f64 v[0:1], -v[10:11], v[15:16], v[0:1]
	v_fma_f64 v[2:3], v[8:9], v[15:16], v[2:3]
	global_store_b128 v[24:25], v[0:3], off
	s_branch .LBB111_9
.LBB111_26:
	s_nop 0
	s_sendmsg sendmsg(MSG_DEALLOC_VGPRS)
	s_endpgm
	.section	.rodata,"a",@progbits
	.p2align	6, 0x0
	.amdhsa_kernel _ZN9rocsparseL23gebsrmvn_general_kernelILj512ELj32E21rocsparse_complex_numIdEEEvi20rocsparse_direction_NS_24const_host_device_scalarIT1_EEPKiS8_PKS5_iiSA_S6_PS5_21rocsparse_index_base_b
		.amdhsa_group_segment_fixed_size 8192
		.amdhsa_private_segment_fixed_size 0
		.amdhsa_kernarg_size 96
		.amdhsa_user_sgpr_count 15
		.amdhsa_user_sgpr_dispatch_ptr 1
		.amdhsa_user_sgpr_queue_ptr 0
		.amdhsa_user_sgpr_kernarg_segment_ptr 1
		.amdhsa_user_sgpr_dispatch_id 0
		.amdhsa_user_sgpr_private_segment_size 0
		.amdhsa_wavefront_size32 1
		.amdhsa_uses_dynamic_stack 0
		.amdhsa_enable_private_segment 0
		.amdhsa_system_sgpr_workgroup_id_x 1
		.amdhsa_system_sgpr_workgroup_id_y 0
		.amdhsa_system_sgpr_workgroup_id_z 0
		.amdhsa_system_sgpr_workgroup_info 0
		.amdhsa_system_vgpr_workitem_id 2
		.amdhsa_next_free_vgpr 32
		.amdhsa_next_free_sgpr 28
		.amdhsa_reserve_vcc 1
		.amdhsa_float_round_mode_32 0
		.amdhsa_float_round_mode_16_64 0
		.amdhsa_float_denorm_mode_32 3
		.amdhsa_float_denorm_mode_16_64 3
		.amdhsa_dx10_clamp 1
		.amdhsa_ieee_mode 1
		.amdhsa_fp16_overflow 0
		.amdhsa_workgroup_processor_mode 1
		.amdhsa_memory_ordered 1
		.amdhsa_forward_progress 0
		.amdhsa_shared_vgpr_count 0
		.amdhsa_exception_fp_ieee_invalid_op 0
		.amdhsa_exception_fp_denorm_src 0
		.amdhsa_exception_fp_ieee_div_zero 0
		.amdhsa_exception_fp_ieee_overflow 0
		.amdhsa_exception_fp_ieee_underflow 0
		.amdhsa_exception_fp_ieee_inexact 0
		.amdhsa_exception_int_div_zero 0
	.end_amdhsa_kernel
	.section	.text._ZN9rocsparseL23gebsrmvn_general_kernelILj512ELj32E21rocsparse_complex_numIdEEEvi20rocsparse_direction_NS_24const_host_device_scalarIT1_EEPKiS8_PKS5_iiSA_S6_PS5_21rocsparse_index_base_b,"axG",@progbits,_ZN9rocsparseL23gebsrmvn_general_kernelILj512ELj32E21rocsparse_complex_numIdEEEvi20rocsparse_direction_NS_24const_host_device_scalarIT1_EEPKiS8_PKS5_iiSA_S6_PS5_21rocsparse_index_base_b,comdat
.Lfunc_end111:
	.size	_ZN9rocsparseL23gebsrmvn_general_kernelILj512ELj32E21rocsparse_complex_numIdEEEvi20rocsparse_direction_NS_24const_host_device_scalarIT1_EEPKiS8_PKS5_iiSA_S6_PS5_21rocsparse_index_base_b, .Lfunc_end111-_ZN9rocsparseL23gebsrmvn_general_kernelILj512ELj32E21rocsparse_complex_numIdEEEvi20rocsparse_direction_NS_24const_host_device_scalarIT1_EEPKiS8_PKS5_iiSA_S6_PS5_21rocsparse_index_base_b
                                        ; -- End function
	.section	.AMDGPU.csdata,"",@progbits
; Kernel info:
; codeLenInByte = 1588
; NumSgprs: 30
; NumVgprs: 32
; ScratchSize: 0
; MemoryBound: 0
; FloatMode: 240
; IeeeMode: 1
; LDSByteSize: 8192 bytes/workgroup (compile time only)
; SGPRBlocks: 3
; VGPRBlocks: 3
; NumSGPRsForWavesPerEU: 30
; NumVGPRsForWavesPerEU: 32
; Occupancy: 16
; WaveLimiterHint : 1
; COMPUTE_PGM_RSRC2:SCRATCH_EN: 0
; COMPUTE_PGM_RSRC2:USER_SGPR: 15
; COMPUTE_PGM_RSRC2:TRAP_HANDLER: 0
; COMPUTE_PGM_RSRC2:TGID_X_EN: 1
; COMPUTE_PGM_RSRC2:TGID_Y_EN: 0
; COMPUTE_PGM_RSRC2:TGID_Z_EN: 0
; COMPUTE_PGM_RSRC2:TIDIG_COMP_CNT: 2
	.section	.text._ZN9rocsparseL22gebsrmvn_mxn_16_kernelILj56ELj14ELj1E21rocsparse_complex_numIdEEEvi20rocsparse_direction_NS_24const_host_device_scalarIT2_EEPKiS8_PKS5_iiSA_S6_PS5_21rocsparse_index_base_b,"axG",@progbits,_ZN9rocsparseL22gebsrmvn_mxn_16_kernelILj56ELj14ELj1E21rocsparse_complex_numIdEEEvi20rocsparse_direction_NS_24const_host_device_scalarIT2_EEPKiS8_PKS5_iiSA_S6_PS5_21rocsparse_index_base_b,comdat
	.globl	_ZN9rocsparseL22gebsrmvn_mxn_16_kernelILj56ELj14ELj1E21rocsparse_complex_numIdEEEvi20rocsparse_direction_NS_24const_host_device_scalarIT2_EEPKiS8_PKS5_iiSA_S6_PS5_21rocsparse_index_base_b ; -- Begin function _ZN9rocsparseL22gebsrmvn_mxn_16_kernelILj56ELj14ELj1E21rocsparse_complex_numIdEEEvi20rocsparse_direction_NS_24const_host_device_scalarIT2_EEPKiS8_PKS5_iiSA_S6_PS5_21rocsparse_index_base_b
	.p2align	8
	.type	_ZN9rocsparseL22gebsrmvn_mxn_16_kernelILj56ELj14ELj1E21rocsparse_complex_numIdEEEvi20rocsparse_direction_NS_24const_host_device_scalarIT2_EEPKiS8_PKS5_iiSA_S6_PS5_21rocsparse_index_base_b,@function
_ZN9rocsparseL22gebsrmvn_mxn_16_kernelILj56ELj14ELj1E21rocsparse_complex_numIdEEEvi20rocsparse_direction_NS_24const_host_device_scalarIT2_EEPKiS8_PKS5_iiSA_S6_PS5_21rocsparse_index_base_b: ; @_ZN9rocsparseL22gebsrmvn_mxn_16_kernelILj56ELj14ELj1E21rocsparse_complex_numIdEEEvi20rocsparse_direction_NS_24const_host_device_scalarIT2_EEPKiS8_PKS5_iiSA_S6_PS5_21rocsparse_index_base_b
; %bb.0:
	s_mov_b32 s12, s15
	s_load_b64 s[14:15], s[2:3], 0x58
	s_load_b64 s[16:17], s[0:1], 0x4
	s_load_b128 s[8:11], s[2:3], 0x8
	v_bfe_u32 v1, v0, 10, 10
	s_mov_b64 s[0:1], src_shared_base
	s_load_b128 s[4:7], s[2:3], 0x40
	v_and_b32_e32 v6, 0x3ff, v0
	v_bfe_u32 v0, v0, 20, 10
	s_waitcnt lgkmcnt(0)
	s_bitcmp1_b32 s15, 0
	v_mul_u32_u24_e32 v1, s17, v1
	s_cselect_b32 s0, -1, 0
	v_mov_b32_e32 v12, s11
	s_and_b32 vcc_lo, s0, exec_lo
	s_cselect_b32 s13, s1, s9
	s_lshr_b32 s15, s16, 16
	v_dual_mov_b32 v2, s4 :: v_dual_mov_b32 v11, s10
	s_mul_i32 s15, s15, s17
	s_xor_b32 s10, s0, -1
	v_mad_u32_u24 v1, s15, v6, v1
	v_mov_b32_e32 v5, s13
	v_mov_b32_e32 v3, s5
	s_delay_alu instid0(VALU_DEP_3) | instskip(SKIP_1) | instid1(VALU_DEP_2)
	v_add_lshl_u32 v7, v1, v0, 3
	v_dual_mov_b32 v0, s8 :: v_dual_mov_b32 v1, s9
	v_add_nc_u32_e32 v4, 0x540, v7
	ds_store_2addr_b64 v7, v[2:3], v[0:1] offset0:112 offset1:168
	v_add_nc_u32_e32 v0, 0x380, v7
	v_cndmask_b32_e64 v4, s8, v4, s0
	flat_load_b64 v[4:5], v[4:5]
	s_cbranch_vccnz .LBB112_2
; %bb.1:
	v_dual_mov_b32 v1, s8 :: v_dual_mov_b32 v2, s9
	flat_load_b64 v[11:12], v[1:2] offset:8
.LBB112_2:
	s_and_b32 s8, s0, exec_lo
	s_cselect_b32 s1, s1, s5
	v_cndmask_b32_e64 v0, s4, v0, s0
	v_dual_mov_b32 v1, s1 :: v_dual_mov_b32 v10, s7
	v_mov_b32_e32 v9, s6
	s_and_not1_b32 vcc_lo, exec_lo, s10
	flat_load_b64 v[7:8], v[0:1]
	s_cbranch_vccnz .LBB112_4
; %bb.3:
	v_dual_mov_b32 v0, s4 :: v_dual_mov_b32 v1, s5
	flat_load_b64 v[9:10], v[0:1] offset:8
.LBB112_4:
	s_waitcnt vmcnt(1) lgkmcnt(1)
	v_cmp_eq_f64_e32 vcc_lo, 0, v[4:5]
	v_cmp_eq_f64_e64 s0, 0, v[11:12]
	s_delay_alu instid0(VALU_DEP_1)
	s_and_b32 s4, vcc_lo, s0
	s_mov_b32 s0, -1
	s_and_saveexec_b32 s1, s4
	s_cbranch_execz .LBB112_6
; %bb.5:
	s_waitcnt vmcnt(0) lgkmcnt(0)
	v_cmp_neq_f64_e32 vcc_lo, 1.0, v[7:8]
	v_cmp_neq_f64_e64 s0, 0, v[9:10]
	s_delay_alu instid0(VALU_DEP_1) | instskip(NEXT) | instid1(SALU_CYCLE_1)
	s_or_b32 s0, vcc_lo, s0
	s_or_not1_b32 s0, s0, exec_lo
.LBB112_6:
	s_or_b32 exec_lo, exec_lo, s1
	s_and_saveexec_b32 s1, s0
	s_cbranch_execz .LBB112_23
; %bb.7:
	s_load_b64 s[0:1], s[2:3], 0x18
	s_ashr_i32 s13, s12, 31
	v_mov_b32_e32 v2, 0
	s_lshl_b64 s[4:5], s[12:13], 2
	v_mov_b32_e32 v3, 0
	s_delay_alu instid0(VALU_DEP_1)
	v_dual_mov_b32 v0, v2 :: v_dual_mov_b32 v1, v3
	s_waitcnt lgkmcnt(0)
	s_add_u32 s0, s0, s4
	s_addc_u32 s1, s1, s5
	s_load_b64 s[10:11], s[0:1], 0x0
	s_load_b64 s[8:9], s[2:3], 0x50
	s_waitcnt lgkmcnt(0)
	s_cmp_ge_i32 s10, s11
	s_cbranch_scc1 .LBB112_12
; %bb.8:
	s_clause 0x1
	s_load_b128 s[4:7], s[2:3], 0x20
	s_load_b64 s[0:1], s[2:3], 0x38
	s_waitcnt vmcnt(0)
	v_mad_u64_u32 v[0:1], null, s10, 14, v[6:7]
	v_mov_b32_e32 v2, 0
	v_mul_u32_u24_e32 v1, 0x124a, v6
	v_dual_mov_b32 v3, 0 :: v_dual_mov_b32 v14, 0
	s_mul_i32 s2, s14, 14
	s_sub_i32 s3, s10, s14
	s_delay_alu instid0(VALU_DEP_2)
	v_lshrrev_b32_e32 v17, 16, v1
	v_subrev_nc_u32_e32 v13, s2, v0
	v_dual_mov_b32 v0, v2 :: v_dual_mov_b32 v1, v3
	s_sub_i32 s2, s11, s14
	s_set_inst_prefetch_distance 0x1
	s_branch .LBB112_10
	.p2align	6
.LBB112_9:                              ;   in Loop: Header=BB112_10 Depth=1
	s_or_b32 exec_lo, exec_lo, s10
	v_add_nc_u32_e32 v13, 56, v13
	s_add_i32 s3, s3, 4
	s_delay_alu instid0(SALU_CYCLE_1)
	s_cmp_ge_i32 s3, s2
	s_cbranch_scc1 .LBB112_12
.LBB112_10:                             ; =>This Inner Loop Header: Depth=1
	v_add_nc_u32_e32 v15, s3, v17
	s_mov_b32 s10, exec_lo
	s_delay_alu instid0(VALU_DEP_1)
	v_cmpx_gt_i32_e64 s2, v15
	s_cbranch_execz .LBB112_9
; %bb.11:                               ;   in Loop: Header=BB112_10 Depth=1
	v_ashrrev_i32_e32 v16, 31, v15
	v_lshlrev_b64 v[18:19], 4, v[13:14]
	s_delay_alu instid0(VALU_DEP_2) | instskip(SKIP_1) | instid1(VALU_DEP_1)
	v_lshlrev_b64 v[15:16], 2, v[15:16]
	s_waitcnt lgkmcnt(0)
	v_add_co_u32 v15, vcc_lo, s4, v15
	s_delay_alu instid0(VALU_DEP_2) | instskip(NEXT) | instid1(VALU_DEP_4)
	v_add_co_ci_u32_e32 v16, vcc_lo, s5, v16, vcc_lo
	v_add_co_u32 v18, vcc_lo, s6, v18
	v_add_co_ci_u32_e32 v19, vcc_lo, s7, v19, vcc_lo
	global_load_b32 v15, v[15:16], off
	s_waitcnt vmcnt(0)
	v_subrev_nc_u32_e32 v15, s14, v15
	s_delay_alu instid0(VALU_DEP_1) | instskip(NEXT) | instid1(VALU_DEP_1)
	v_ashrrev_i32_e32 v16, 31, v15
	v_lshlrev_b64 v[15:16], 4, v[15:16]
	s_delay_alu instid0(VALU_DEP_1) | instskip(NEXT) | instid1(VALU_DEP_2)
	v_add_co_u32 v15, vcc_lo, s0, v15
	v_add_co_ci_u32_e32 v16, vcc_lo, s1, v16, vcc_lo
	global_load_b128 v[18:21], v[18:19], off
	global_load_b128 v[22:25], v[15:16], off
	s_waitcnt vmcnt(0)
	v_fma_f64 v[0:1], v[18:19], v[22:23], v[0:1]
	v_fma_f64 v[2:3], v[20:21], v[22:23], v[2:3]
	s_delay_alu instid0(VALU_DEP_2) | instskip(NEXT) | instid1(VALU_DEP_2)
	v_fma_f64 v[0:1], -v[20:21], v[24:25], v[0:1]
	v_fma_f64 v[2:3], v[18:19], v[24:25], v[2:3]
	s_branch .LBB112_9
.LBB112_12:
	s_set_inst_prefetch_distance 0x2
	v_lshlrev_b32_e32 v13, 4, v6
	s_waitcnt lgkmcnt(0)
	s_mov_b32 s0, exec_lo
	ds_store_b128 v13, v[0:3]
	s_waitcnt vmcnt(0) lgkmcnt(0)
	s_barrier
	buffer_gl0_inv
	v_cmpx_gt_u32_e32 28, v6
	s_cbranch_execz .LBB112_14
; %bb.13:
	ds_load_b128 v[14:17], v13 offset:448
	ds_load_b128 v[18:21], v13
	s_waitcnt lgkmcnt(0)
	v_add_f64 v[14:15], v[14:15], v[18:19]
	v_add_f64 v[16:17], v[16:17], v[20:21]
	ds_store_b128 v13, v[14:17]
.LBB112_14:
	s_or_b32 exec_lo, exec_lo, s0
	v_cmp_gt_u32_e32 vcc_lo, 14, v6
	s_waitcnt lgkmcnt(0)
	s_barrier
	buffer_gl0_inv
	s_and_saveexec_b32 s0, vcc_lo
	s_cbranch_execz .LBB112_16
; %bb.15:
	ds_load_b128 v[14:17], v13 offset:224
	ds_load_b128 v[18:21], v13
	s_waitcnt lgkmcnt(0)
	v_add_f64 v[14:15], v[14:15], v[18:19]
	v_add_f64 v[16:17], v[16:17], v[20:21]
	ds_store_b128 v13, v[14:17]
.LBB112_16:
	s_or_b32 exec_lo, exec_lo, s0
	s_waitcnt lgkmcnt(0)
	s_barrier
	buffer_gl0_inv
	s_and_saveexec_b32 s0, vcc_lo
	s_cbranch_execz .LBB112_18
; %bb.17:
	ds_load_b128 v[0:3], v13
.LBB112_18:
	s_or_b32 exec_lo, exec_lo, s0
	s_delay_alu instid0(SALU_CYCLE_1)
	s_and_b32 exec_lo, exec_lo, vcc_lo
	s_cbranch_execz .LBB112_23
; %bb.19:
	s_waitcnt lgkmcnt(0)
	v_mul_f64 v[13:14], v[2:3], -v[11:12]
	v_mul_f64 v[15:16], v[4:5], v[2:3]
	v_cmp_eq_f64_e32 vcc_lo, 0, v[7:8]
	v_cmp_eq_f64_e64 s0, 0, v[9:10]
	s_delay_alu instid0(VALU_DEP_4) | instskip(NEXT) | instid1(VALU_DEP_4)
	v_fma_f64 v[2:3], v[4:5], v[0:1], v[13:14]
	v_fma_f64 v[4:5], v[11:12], v[0:1], v[15:16]
	s_delay_alu instid0(VALU_DEP_3) | instskip(NEXT) | instid1(SALU_CYCLE_1)
	s_and_b32 s0, vcc_lo, s0
	s_and_saveexec_b32 s1, s0
	s_delay_alu instid0(SALU_CYCLE_1)
	s_xor_b32 s0, exec_lo, s1
	s_cbranch_execz .LBB112_21
; %bb.20:
	v_mad_u64_u32 v[0:1], null, s12, 14, v[6:7]
	v_mov_b32_e32 v1, 0
                                        ; implicit-def: $vgpr6
                                        ; implicit-def: $vgpr7_vgpr8
                                        ; implicit-def: $vgpr9_vgpr10
	s_delay_alu instid0(VALU_DEP_1) | instskip(NEXT) | instid1(VALU_DEP_1)
	v_lshlrev_b64 v[0:1], 4, v[0:1]
	v_add_co_u32 v0, vcc_lo, s8, v0
	s_delay_alu instid0(VALU_DEP_2)
	v_add_co_ci_u32_e32 v1, vcc_lo, s9, v1, vcc_lo
	global_store_b128 v[0:1], v[2:5], off
                                        ; implicit-def: $vgpr2_vgpr3
.LBB112_21:
	s_and_not1_saveexec_b32 s0, s0
	s_cbranch_execz .LBB112_23
; %bb.22:
	v_mad_u64_u32 v[0:1], null, s12, 14, v[6:7]
	v_mov_b32_e32 v1, 0
	s_delay_alu instid0(VALU_DEP_1) | instskip(NEXT) | instid1(VALU_DEP_1)
	v_lshlrev_b64 v[0:1], 4, v[0:1]
	v_add_co_u32 v15, vcc_lo, s8, v0
	s_delay_alu instid0(VALU_DEP_2) | instskip(SKIP_4) | instid1(VALU_DEP_2)
	v_add_co_ci_u32_e32 v16, vcc_lo, s9, v1, vcc_lo
	global_load_b128 v[11:14], v[15:16], off
	s_waitcnt vmcnt(0)
	v_fma_f64 v[0:1], v[7:8], v[11:12], v[2:3]
	v_fma_f64 v[2:3], v[9:10], v[11:12], v[4:5]
	v_fma_f64 v[0:1], -v[9:10], v[13:14], v[0:1]
	s_delay_alu instid0(VALU_DEP_2)
	v_fma_f64 v[2:3], v[7:8], v[13:14], v[2:3]
	global_store_b128 v[15:16], v[0:3], off
.LBB112_23:
	s_nop 0
	s_sendmsg sendmsg(MSG_DEALLOC_VGPRS)
	s_endpgm
	.section	.rodata,"a",@progbits
	.p2align	6, 0x0
	.amdhsa_kernel _ZN9rocsparseL22gebsrmvn_mxn_16_kernelILj56ELj14ELj1E21rocsparse_complex_numIdEEEvi20rocsparse_direction_NS_24const_host_device_scalarIT2_EEPKiS8_PKS5_iiSA_S6_PS5_21rocsparse_index_base_b
		.amdhsa_group_segment_fixed_size 1792
		.amdhsa_private_segment_fixed_size 0
		.amdhsa_kernarg_size 96
		.amdhsa_user_sgpr_count 15
		.amdhsa_user_sgpr_dispatch_ptr 1
		.amdhsa_user_sgpr_queue_ptr 0
		.amdhsa_user_sgpr_kernarg_segment_ptr 1
		.amdhsa_user_sgpr_dispatch_id 0
		.amdhsa_user_sgpr_private_segment_size 0
		.amdhsa_wavefront_size32 1
		.amdhsa_uses_dynamic_stack 0
		.amdhsa_enable_private_segment 0
		.amdhsa_system_sgpr_workgroup_id_x 1
		.amdhsa_system_sgpr_workgroup_id_y 0
		.amdhsa_system_sgpr_workgroup_id_z 0
		.amdhsa_system_sgpr_workgroup_info 0
		.amdhsa_system_vgpr_workitem_id 2
		.amdhsa_next_free_vgpr 26
		.amdhsa_next_free_sgpr 18
		.amdhsa_reserve_vcc 1
		.amdhsa_float_round_mode_32 0
		.amdhsa_float_round_mode_16_64 0
		.amdhsa_float_denorm_mode_32 3
		.amdhsa_float_denorm_mode_16_64 3
		.amdhsa_dx10_clamp 1
		.amdhsa_ieee_mode 1
		.amdhsa_fp16_overflow 0
		.amdhsa_workgroup_processor_mode 1
		.amdhsa_memory_ordered 1
		.amdhsa_forward_progress 0
		.amdhsa_shared_vgpr_count 0
		.amdhsa_exception_fp_ieee_invalid_op 0
		.amdhsa_exception_fp_denorm_src 0
		.amdhsa_exception_fp_ieee_div_zero 0
		.amdhsa_exception_fp_ieee_overflow 0
		.amdhsa_exception_fp_ieee_underflow 0
		.amdhsa_exception_fp_ieee_inexact 0
		.amdhsa_exception_int_div_zero 0
	.end_amdhsa_kernel
	.section	.text._ZN9rocsparseL22gebsrmvn_mxn_16_kernelILj56ELj14ELj1E21rocsparse_complex_numIdEEEvi20rocsparse_direction_NS_24const_host_device_scalarIT2_EEPKiS8_PKS5_iiSA_S6_PS5_21rocsparse_index_base_b,"axG",@progbits,_ZN9rocsparseL22gebsrmvn_mxn_16_kernelILj56ELj14ELj1E21rocsparse_complex_numIdEEEvi20rocsparse_direction_NS_24const_host_device_scalarIT2_EEPKiS8_PKS5_iiSA_S6_PS5_21rocsparse_index_base_b,comdat
.Lfunc_end112:
	.size	_ZN9rocsparseL22gebsrmvn_mxn_16_kernelILj56ELj14ELj1E21rocsparse_complex_numIdEEEvi20rocsparse_direction_NS_24const_host_device_scalarIT2_EEPKiS8_PKS5_iiSA_S6_PS5_21rocsparse_index_base_b, .Lfunc_end112-_ZN9rocsparseL22gebsrmvn_mxn_16_kernelILj56ELj14ELj1E21rocsparse_complex_numIdEEEvi20rocsparse_direction_NS_24const_host_device_scalarIT2_EEPKiS8_PKS5_iiSA_S6_PS5_21rocsparse_index_base_b
                                        ; -- End function
	.section	.AMDGPU.csdata,"",@progbits
; Kernel info:
; codeLenInByte = 1184
; NumSgprs: 20
; NumVgprs: 26
; ScratchSize: 0
; MemoryBound: 0
; FloatMode: 240
; IeeeMode: 1
; LDSByteSize: 1792 bytes/workgroup (compile time only)
; SGPRBlocks: 2
; VGPRBlocks: 3
; NumSGPRsForWavesPerEU: 20
; NumVGPRsForWavesPerEU: 26
; Occupancy: 16
; WaveLimiterHint : 1
; COMPUTE_PGM_RSRC2:SCRATCH_EN: 0
; COMPUTE_PGM_RSRC2:USER_SGPR: 15
; COMPUTE_PGM_RSRC2:TRAP_HANDLER: 0
; COMPUTE_PGM_RSRC2:TGID_X_EN: 1
; COMPUTE_PGM_RSRC2:TGID_Y_EN: 0
; COMPUTE_PGM_RSRC2:TGID_Z_EN: 0
; COMPUTE_PGM_RSRC2:TIDIG_COMP_CNT: 2
	.section	.text._ZN9rocsparseL22gebsrmvn_mxn_16_kernelILj56ELj14ELj2E21rocsparse_complex_numIdEEEvi20rocsparse_direction_NS_24const_host_device_scalarIT2_EEPKiS8_PKS5_iiSA_S6_PS5_21rocsparse_index_base_b,"axG",@progbits,_ZN9rocsparseL22gebsrmvn_mxn_16_kernelILj56ELj14ELj2E21rocsparse_complex_numIdEEEvi20rocsparse_direction_NS_24const_host_device_scalarIT2_EEPKiS8_PKS5_iiSA_S6_PS5_21rocsparse_index_base_b,comdat
	.globl	_ZN9rocsparseL22gebsrmvn_mxn_16_kernelILj56ELj14ELj2E21rocsparse_complex_numIdEEEvi20rocsparse_direction_NS_24const_host_device_scalarIT2_EEPKiS8_PKS5_iiSA_S6_PS5_21rocsparse_index_base_b ; -- Begin function _ZN9rocsparseL22gebsrmvn_mxn_16_kernelILj56ELj14ELj2E21rocsparse_complex_numIdEEEvi20rocsparse_direction_NS_24const_host_device_scalarIT2_EEPKiS8_PKS5_iiSA_S6_PS5_21rocsparse_index_base_b
	.p2align	8
	.type	_ZN9rocsparseL22gebsrmvn_mxn_16_kernelILj56ELj14ELj2E21rocsparse_complex_numIdEEEvi20rocsparse_direction_NS_24const_host_device_scalarIT2_EEPKiS8_PKS5_iiSA_S6_PS5_21rocsparse_index_base_b,@function
_ZN9rocsparseL22gebsrmvn_mxn_16_kernelILj56ELj14ELj2E21rocsparse_complex_numIdEEEvi20rocsparse_direction_NS_24const_host_device_scalarIT2_EEPKiS8_PKS5_iiSA_S6_PS5_21rocsparse_index_base_b: ; @_ZN9rocsparseL22gebsrmvn_mxn_16_kernelILj56ELj14ELj2E21rocsparse_complex_numIdEEEvi20rocsparse_direction_NS_24const_host_device_scalarIT2_EEPKiS8_PKS5_iiSA_S6_PS5_21rocsparse_index_base_b
; %bb.0:
	s_mov_b32 s12, s15
	s_load_b64 s[14:15], s[2:3], 0x58
	s_load_b64 s[16:17], s[0:1], 0x4
	s_load_b128 s[8:11], s[2:3], 0x8
	v_bfe_u32 v1, v0, 10, 10
	s_mov_b64 s[0:1], src_shared_base
	s_load_b128 s[4:7], s[2:3], 0x40
	v_and_b32_e32 v8, 0x3ff, v0
	v_bfe_u32 v0, v0, 20, 10
	s_waitcnt lgkmcnt(0)
	s_bitcmp1_b32 s15, 0
	v_mul_u32_u24_e32 v1, s17, v1
	s_cselect_b32 s0, -1, 0
	v_mov_b32_e32 v16, s11
	s_and_b32 vcc_lo, s0, exec_lo
	s_cselect_b32 s13, s1, s9
	s_lshr_b32 s15, s16, 16
	v_dual_mov_b32 v2, s4 :: v_dual_mov_b32 v15, s10
	s_mul_i32 s15, s15, s17
	s_xor_b32 s10, s0, -1
	v_mad_u32_u24 v1, s15, v8, v1
	v_mov_b32_e32 v5, s13
	v_mov_b32_e32 v3, s5
	s_delay_alu instid0(VALU_DEP_3) | instskip(SKIP_1) | instid1(VALU_DEP_2)
	v_add_lshl_u32 v6, v1, v0, 3
	v_dual_mov_b32 v0, s8 :: v_dual_mov_b32 v1, s9
	v_add_nc_u32_e32 v4, 0x540, v6
	ds_store_2addr_b64 v6, v[2:3], v[0:1] offset0:112 offset1:168
	v_add_nc_u32_e32 v0, 0x380, v6
	v_cndmask_b32_e64 v4, s8, v4, s0
	flat_load_b64 v[13:14], v[4:5]
	s_cbranch_vccnz .LBB113_2
; %bb.1:
	v_dual_mov_b32 v1, s8 :: v_dual_mov_b32 v2, s9
	flat_load_b64 v[15:16], v[1:2] offset:8
.LBB113_2:
	s_and_b32 s8, s0, exec_lo
	s_cselect_b32 s1, s1, s5
	v_cndmask_b32_e64 v0, s4, v0, s0
	v_dual_mov_b32 v1, s1 :: v_dual_mov_b32 v12, s7
	v_mov_b32_e32 v11, s6
	s_and_not1_b32 vcc_lo, exec_lo, s10
	flat_load_b64 v[9:10], v[0:1]
	s_cbranch_vccnz .LBB113_4
; %bb.3:
	v_dual_mov_b32 v0, s4 :: v_dual_mov_b32 v1, s5
	flat_load_b64 v[11:12], v[0:1] offset:8
.LBB113_4:
	s_waitcnt vmcnt(1) lgkmcnt(1)
	v_cmp_eq_f64_e32 vcc_lo, 0, v[13:14]
	v_cmp_eq_f64_e64 s0, 0, v[15:16]
	s_delay_alu instid0(VALU_DEP_1)
	s_and_b32 s4, vcc_lo, s0
	s_mov_b32 s0, -1
	s_and_saveexec_b32 s1, s4
	s_cbranch_execz .LBB113_6
; %bb.5:
	s_waitcnt vmcnt(0) lgkmcnt(0)
	v_cmp_neq_f64_e32 vcc_lo, 1.0, v[9:10]
	v_cmp_neq_f64_e64 s0, 0, v[11:12]
	s_delay_alu instid0(VALU_DEP_1) | instskip(NEXT) | instid1(SALU_CYCLE_1)
	s_or_b32 s0, vcc_lo, s0
	s_or_not1_b32 s0, s0, exec_lo
.LBB113_6:
	s_or_b32 exec_lo, exec_lo, s1
	s_and_saveexec_b32 s1, s0
	s_cbranch_execz .LBB113_33
; %bb.7:
	s_clause 0x1
	s_load_b32 s4, s[2:3], 0x4
	s_load_b64 s[0:1], s[2:3], 0x18
	v_and_b32_e32 v17, 1, v8
	s_delay_alu instid0(VALU_DEP_1) | instskip(SKIP_3) | instid1(SALU_CYCLE_1)
	v_mov_b32_e32 v18, v17
	s_waitcnt lgkmcnt(0)
	s_cmp_lg_u32 s4, 1
	s_cselect_b32 s15, -1, 0
	s_and_b32 vcc_lo, exec_lo, s15
	s_cbranch_vccnz .LBB113_9
; %bb.8:
	v_mul_u32_u24_e32 v0, 0x124a, v8
	s_delay_alu instid0(VALU_DEP_1)
	v_bfe_u32 v18, v0, 16, 1
.LBB113_9:
	s_ashr_i32 s13, s12, 31
	v_mov_b32_e32 v2, 0
	s_lshl_b64 s[4:5], s[12:13], 2
	v_mov_b32_e32 v3, 0
	s_add_u32 s0, s0, s4
	s_addc_u32 s1, s1, s5
	v_mov_b32_e32 v0, v2
	s_load_b64 s[10:11], s[0:1], 0x0
	s_load_b64 s[8:9], s[2:3], 0x50
	v_mov_b32_e32 v1, v3
	s_waitcnt lgkmcnt(0)
	s_cmp_ge_i32 s10, s11
	s_cbranch_scc1 .LBB113_14
; %bb.10:
	s_clause 0x1
	s_load_b128 s[4:7], s[2:3], 0x20
	s_load_b64 s[0:1], s[2:3], 0x38
	s_waitcnt vmcnt(0)
	v_mad_u64_u32 v[0:1], null, s10, 28, v[8:9]
	v_dual_mov_b32 v2, 0 :: v_dual_mov_b32 v5, 0
	v_mul_u32_u24_e32 v1, 0x925, v8
	v_mov_b32_e32 v3, 0
	s_mul_i32 s2, s14, 28
	s_sub_i32 s3, s10, s14
	s_delay_alu instid0(VALU_DEP_4)
	v_subrev_nc_u32_e32 v4, s2, v0
	v_lshrrev_b32_e32 v19, 16, v1
	v_dual_mov_b32 v0, v2 :: v_dual_mov_b32 v1, v3
	s_sub_i32 s2, s11, s14
	s_set_inst_prefetch_distance 0x1
	s_branch .LBB113_12
	.p2align	6
.LBB113_11:                             ;   in Loop: Header=BB113_12 Depth=1
	s_or_b32 exec_lo, exec_lo, s10
	v_add_nc_u32_e32 v4, 56, v4
	s_add_i32 s3, s3, 2
	s_delay_alu instid0(SALU_CYCLE_1)
	s_cmp_ge_i32 s3, s2
	s_cbranch_scc1 .LBB113_14
.LBB113_12:                             ; =>This Inner Loop Header: Depth=1
	v_add_nc_u32_e32 v6, s3, v19
	s_mov_b32 s10, exec_lo
	s_delay_alu instid0(VALU_DEP_1)
	v_cmpx_gt_i32_e64 s2, v6
	s_cbranch_execz .LBB113_11
; %bb.13:                               ;   in Loop: Header=BB113_12 Depth=1
	v_ashrrev_i32_e32 v7, 31, v6
	v_lshlrev_b64 v[20:21], 4, v[4:5]
	s_delay_alu instid0(VALU_DEP_2) | instskip(SKIP_1) | instid1(VALU_DEP_1)
	v_lshlrev_b64 v[6:7], 2, v[6:7]
	s_waitcnt lgkmcnt(0)
	v_add_co_u32 v6, vcc_lo, s4, v6
	s_delay_alu instid0(VALU_DEP_2) | instskip(NEXT) | instid1(VALU_DEP_4)
	v_add_co_ci_u32_e32 v7, vcc_lo, s5, v7, vcc_lo
	v_add_co_u32 v20, vcc_lo, s6, v20
	v_add_co_ci_u32_e32 v21, vcc_lo, s7, v21, vcc_lo
	global_load_b32 v6, v[6:7], off
	s_waitcnt vmcnt(0)
	v_subrev_nc_u32_e32 v6, s14, v6
	s_delay_alu instid0(VALU_DEP_1) | instskip(NEXT) | instid1(VALU_DEP_1)
	v_lshl_or_b32 v6, v6, 1, v18
	v_ashrrev_i32_e32 v7, 31, v6
	s_delay_alu instid0(VALU_DEP_1) | instskip(NEXT) | instid1(VALU_DEP_1)
	v_lshlrev_b64 v[6:7], 4, v[6:7]
	v_add_co_u32 v6, vcc_lo, s0, v6
	s_delay_alu instid0(VALU_DEP_2)
	v_add_co_ci_u32_e32 v7, vcc_lo, s1, v7, vcc_lo
	global_load_b128 v[20:23], v[20:21], off
	global_load_b128 v[24:27], v[6:7], off
	s_waitcnt vmcnt(0)
	v_fma_f64 v[0:1], v[20:21], v[24:25], v[0:1]
	v_fma_f64 v[2:3], v[22:23], v[24:25], v[2:3]
	s_delay_alu instid0(VALU_DEP_2) | instskip(NEXT) | instid1(VALU_DEP_2)
	v_fma_f64 v[0:1], -v[22:23], v[26:27], v[0:1]
	v_fma_f64 v[2:3], v[20:21], v[26:27], v[2:3]
	s_branch .LBB113_11
.LBB113_14:
	s_set_inst_prefetch_distance 0x2
	v_lshlrev_b32_e32 v18, 4, v8
	s_waitcnt lgkmcnt(0)
	s_mov_b32 s0, exec_lo
	ds_store_b128 v18, v[0:3]
	s_waitcnt vmcnt(0) lgkmcnt(0)
	s_barrier
	buffer_gl0_inv
	v_cmpx_gt_u32_e32 28, v8
	s_cbranch_execz .LBB113_16
; %bb.15:
	ds_load_b128 v[4:7], v18 offset:448
	ds_load_b128 v[19:22], v18
	s_waitcnt lgkmcnt(0)
	v_add_f64 v[4:5], v[4:5], v[19:20]
	v_add_f64 v[6:7], v[6:7], v[21:22]
	ds_store_b128 v18, v[4:7]
.LBB113_16:
	s_or_b32 exec_lo, exec_lo, s0
	s_delay_alu instid0(SALU_CYCLE_1)
	s_and_b32 vcc_lo, exec_lo, s15
	s_waitcnt lgkmcnt(0)
	s_barrier
	buffer_gl0_inv
	s_cbranch_vccz .LBB113_22
; %bb.17:
	s_mov_b32 s0, exec_lo
	v_cmpx_eq_u32_e32 0, v17
	s_cbranch_execz .LBB113_19
; %bb.18:
	ds_load_b128 v[4:7], v18
	ds_load_b128 v[19:22], v18 offset:16
	s_waitcnt lgkmcnt(0)
	v_add_f64 v[4:5], v[19:20], v[4:5]
	v_add_f64 v[6:7], v[21:22], v[6:7]
	ds_store_b128 v18, v[4:7]
.LBB113_19:
	s_or_b32 exec_lo, exec_lo, s0
	v_dual_mov_b32 v7, v3 :: v_dual_mov_b32 v6, v2
	v_dual_mov_b32 v5, v1 :: v_dual_mov_b32 v4, v0
	s_mov_b32 s0, exec_lo
	s_waitcnt lgkmcnt(0)
	s_barrier
	buffer_gl0_inv
	v_cmpx_gt_u32_e32 14, v8
	s_cbranch_execz .LBB113_21
; %bb.20:
	v_lshl_add_u32 v4, v8, 4, v18
	ds_load_b128 v[4:7], v4
.LBB113_21:
	s_or_b32 exec_lo, exec_lo, s0
	s_branch .LBB113_28
.LBB113_22:
                                        ; implicit-def: $vgpr6_vgpr7
	s_cbranch_execz .LBB113_28
; %bb.23:
	s_mov_b32 s0, exec_lo
	v_cmpx_lt_u32_e32 13, v8
	s_xor_b32 s0, exec_lo, s0
	s_cbranch_execz .LBB113_25
; %bb.24:
	s_waitcnt lgkmcnt(0)
	buffer_gl0_inv
                                        ; implicit-def: $vgpr18
.LBB113_25:
	s_and_not1_saveexec_b32 s0, s0
	s_cbranch_execz .LBB113_27
; %bb.26:
	ds_load_b128 v[0:3], v18 offset:224
	s_waitcnt lgkmcnt(1)
	ds_load_b128 v[4:7], v18
	s_waitcnt lgkmcnt(0)
	v_add_f64 v[0:1], v[0:1], v[4:5]
	v_add_f64 v[2:3], v[2:3], v[6:7]
	ds_store_b128 v18, v[0:3]
	s_waitcnt lgkmcnt(0)
	buffer_gl0_inv
	ds_load_b128 v[0:3], v18
.LBB113_27:
	s_or_b32 exec_lo, exec_lo, s0
	s_waitcnt lgkmcnt(0)
	v_dual_mov_b32 v5, v1 :: v_dual_mov_b32 v4, v0
	v_dual_mov_b32 v7, v3 :: v_dual_mov_b32 v6, v2
.LBB113_28:
	v_cmp_gt_u32_e32 vcc_lo, 14, v8
	s_and_b32 exec_lo, exec_lo, vcc_lo
	s_cbranch_execz .LBB113_33
; %bb.29:
	s_waitcnt lgkmcnt(0)
	v_mul_f64 v[0:1], v[6:7], -v[15:16]
	v_mul_f64 v[2:3], v[13:14], v[6:7]
	v_cmp_eq_f64_e32 vcc_lo, 0, v[9:10]
	v_cmp_eq_f64_e64 s0, 0, v[11:12]
	s_delay_alu instid0(VALU_DEP_4) | instskip(NEXT) | instid1(VALU_DEP_4)
	v_fma_f64 v[0:1], v[13:14], v[4:5], v[0:1]
	v_fma_f64 v[2:3], v[15:16], v[4:5], v[2:3]
	s_delay_alu instid0(VALU_DEP_3) | instskip(NEXT) | instid1(SALU_CYCLE_1)
	s_and_b32 s0, vcc_lo, s0
	s_and_saveexec_b32 s1, s0
	s_delay_alu instid0(SALU_CYCLE_1)
	s_xor_b32 s0, exec_lo, s1
	s_cbranch_execz .LBB113_31
; %bb.30:
	v_mad_u64_u32 v[4:5], null, s12, 14, v[8:9]
	v_mov_b32_e32 v5, 0
                                        ; implicit-def: $vgpr8
                                        ; implicit-def: $vgpr9_vgpr10
                                        ; implicit-def: $vgpr11_vgpr12
	s_delay_alu instid0(VALU_DEP_1) | instskip(NEXT) | instid1(VALU_DEP_1)
	v_lshlrev_b64 v[4:5], 4, v[4:5]
	v_add_co_u32 v4, vcc_lo, s8, v4
	s_delay_alu instid0(VALU_DEP_2)
	v_add_co_ci_u32_e32 v5, vcc_lo, s9, v5, vcc_lo
	global_store_b128 v[4:5], v[0:3], off
                                        ; implicit-def: $vgpr0_vgpr1
.LBB113_31:
	s_and_not1_saveexec_b32 s0, s0
	s_cbranch_execz .LBB113_33
; %bb.32:
	v_mad_u64_u32 v[4:5], null, s12, 14, v[8:9]
	v_mov_b32_e32 v5, 0
	s_delay_alu instid0(VALU_DEP_1) | instskip(NEXT) | instid1(VALU_DEP_1)
	v_lshlrev_b64 v[4:5], 4, v[4:5]
	v_add_co_u32 v13, vcc_lo, s8, v4
	s_delay_alu instid0(VALU_DEP_2) | instskip(SKIP_4) | instid1(VALU_DEP_2)
	v_add_co_ci_u32_e32 v14, vcc_lo, s9, v5, vcc_lo
	global_load_b128 v[4:7], v[13:14], off
	s_waitcnt vmcnt(0)
	v_fma_f64 v[0:1], v[9:10], v[4:5], v[0:1]
	v_fma_f64 v[2:3], v[11:12], v[4:5], v[2:3]
	v_fma_f64 v[0:1], -v[11:12], v[6:7], v[0:1]
	s_delay_alu instid0(VALU_DEP_2)
	v_fma_f64 v[2:3], v[9:10], v[6:7], v[2:3]
	global_store_b128 v[13:14], v[0:3], off
.LBB113_33:
	s_nop 0
	s_sendmsg sendmsg(MSG_DEALLOC_VGPRS)
	s_endpgm
	.section	.rodata,"a",@progbits
	.p2align	6, 0x0
	.amdhsa_kernel _ZN9rocsparseL22gebsrmvn_mxn_16_kernelILj56ELj14ELj2E21rocsparse_complex_numIdEEEvi20rocsparse_direction_NS_24const_host_device_scalarIT2_EEPKiS8_PKS5_iiSA_S6_PS5_21rocsparse_index_base_b
		.amdhsa_group_segment_fixed_size 1792
		.amdhsa_private_segment_fixed_size 0
		.amdhsa_kernarg_size 96
		.amdhsa_user_sgpr_count 15
		.amdhsa_user_sgpr_dispatch_ptr 1
		.amdhsa_user_sgpr_queue_ptr 0
		.amdhsa_user_sgpr_kernarg_segment_ptr 1
		.amdhsa_user_sgpr_dispatch_id 0
		.amdhsa_user_sgpr_private_segment_size 0
		.amdhsa_wavefront_size32 1
		.amdhsa_uses_dynamic_stack 0
		.amdhsa_enable_private_segment 0
		.amdhsa_system_sgpr_workgroup_id_x 1
		.amdhsa_system_sgpr_workgroup_id_y 0
		.amdhsa_system_sgpr_workgroup_id_z 0
		.amdhsa_system_sgpr_workgroup_info 0
		.amdhsa_system_vgpr_workitem_id 2
		.amdhsa_next_free_vgpr 28
		.amdhsa_next_free_sgpr 18
		.amdhsa_reserve_vcc 1
		.amdhsa_float_round_mode_32 0
		.amdhsa_float_round_mode_16_64 0
		.amdhsa_float_denorm_mode_32 3
		.amdhsa_float_denorm_mode_16_64 3
		.amdhsa_dx10_clamp 1
		.amdhsa_ieee_mode 1
		.amdhsa_fp16_overflow 0
		.amdhsa_workgroup_processor_mode 1
		.amdhsa_memory_ordered 1
		.amdhsa_forward_progress 0
		.amdhsa_shared_vgpr_count 0
		.amdhsa_exception_fp_ieee_invalid_op 0
		.amdhsa_exception_fp_denorm_src 0
		.amdhsa_exception_fp_ieee_div_zero 0
		.amdhsa_exception_fp_ieee_overflow 0
		.amdhsa_exception_fp_ieee_underflow 0
		.amdhsa_exception_fp_ieee_inexact 0
		.amdhsa_exception_int_div_zero 0
	.end_amdhsa_kernel
	.section	.text._ZN9rocsparseL22gebsrmvn_mxn_16_kernelILj56ELj14ELj2E21rocsparse_complex_numIdEEEvi20rocsparse_direction_NS_24const_host_device_scalarIT2_EEPKiS8_PKS5_iiSA_S6_PS5_21rocsparse_index_base_b,"axG",@progbits,_ZN9rocsparseL22gebsrmvn_mxn_16_kernelILj56ELj14ELj2E21rocsparse_complex_numIdEEEvi20rocsparse_direction_NS_24const_host_device_scalarIT2_EEPKiS8_PKS5_iiSA_S6_PS5_21rocsparse_index_base_b,comdat
.Lfunc_end113:
	.size	_ZN9rocsparseL22gebsrmvn_mxn_16_kernelILj56ELj14ELj2E21rocsparse_complex_numIdEEEvi20rocsparse_direction_NS_24const_host_device_scalarIT2_EEPKiS8_PKS5_iiSA_S6_PS5_21rocsparse_index_base_b, .Lfunc_end113-_ZN9rocsparseL22gebsrmvn_mxn_16_kernelILj56ELj14ELj2E21rocsparse_complex_numIdEEEvi20rocsparse_direction_NS_24const_host_device_scalarIT2_EEPKiS8_PKS5_iiSA_S6_PS5_21rocsparse_index_base_b
                                        ; -- End function
	.section	.AMDGPU.csdata,"",@progbits
; Kernel info:
; codeLenInByte = 1428
; NumSgprs: 20
; NumVgprs: 28
; ScratchSize: 0
; MemoryBound: 0
; FloatMode: 240
; IeeeMode: 1
; LDSByteSize: 1792 bytes/workgroup (compile time only)
; SGPRBlocks: 2
; VGPRBlocks: 3
; NumSGPRsForWavesPerEU: 20
; NumVGPRsForWavesPerEU: 28
; Occupancy: 16
; WaveLimiterHint : 1
; COMPUTE_PGM_RSRC2:SCRATCH_EN: 0
; COMPUTE_PGM_RSRC2:USER_SGPR: 15
; COMPUTE_PGM_RSRC2:TRAP_HANDLER: 0
; COMPUTE_PGM_RSRC2:TGID_X_EN: 1
; COMPUTE_PGM_RSRC2:TGID_Y_EN: 0
; COMPUTE_PGM_RSRC2:TGID_Z_EN: 0
; COMPUTE_PGM_RSRC2:TIDIG_COMP_CNT: 2
	.section	.text._ZN9rocsparseL22gebsrmvn_mxn_16_kernelILj42ELj14ELj3E21rocsparse_complex_numIdEEEvi20rocsparse_direction_NS_24const_host_device_scalarIT2_EEPKiS8_PKS5_iiSA_S6_PS5_21rocsparse_index_base_b,"axG",@progbits,_ZN9rocsparseL22gebsrmvn_mxn_16_kernelILj42ELj14ELj3E21rocsparse_complex_numIdEEEvi20rocsparse_direction_NS_24const_host_device_scalarIT2_EEPKiS8_PKS5_iiSA_S6_PS5_21rocsparse_index_base_b,comdat
	.globl	_ZN9rocsparseL22gebsrmvn_mxn_16_kernelILj42ELj14ELj3E21rocsparse_complex_numIdEEEvi20rocsparse_direction_NS_24const_host_device_scalarIT2_EEPKiS8_PKS5_iiSA_S6_PS5_21rocsparse_index_base_b ; -- Begin function _ZN9rocsparseL22gebsrmvn_mxn_16_kernelILj42ELj14ELj3E21rocsparse_complex_numIdEEEvi20rocsparse_direction_NS_24const_host_device_scalarIT2_EEPKiS8_PKS5_iiSA_S6_PS5_21rocsparse_index_base_b
	.p2align	8
	.type	_ZN9rocsparseL22gebsrmvn_mxn_16_kernelILj42ELj14ELj3E21rocsparse_complex_numIdEEEvi20rocsparse_direction_NS_24const_host_device_scalarIT2_EEPKiS8_PKS5_iiSA_S6_PS5_21rocsparse_index_base_b,@function
_ZN9rocsparseL22gebsrmvn_mxn_16_kernelILj42ELj14ELj3E21rocsparse_complex_numIdEEEvi20rocsparse_direction_NS_24const_host_device_scalarIT2_EEPKiS8_PKS5_iiSA_S6_PS5_21rocsparse_index_base_b: ; @_ZN9rocsparseL22gebsrmvn_mxn_16_kernelILj42ELj14ELj3E21rocsparse_complex_numIdEEEvi20rocsparse_direction_NS_24const_host_device_scalarIT2_EEPKiS8_PKS5_iiSA_S6_PS5_21rocsparse_index_base_b
; %bb.0:
	s_mov_b32 s12, s15
	s_load_b64 s[14:15], s[2:3], 0x58
	s_load_b64 s[16:17], s[0:1], 0x4
	s_load_b128 s[8:11], s[2:3], 0x8
	v_bfe_u32 v1, v0, 10, 10
	s_mov_b64 s[0:1], src_shared_base
	s_load_b128 s[4:7], s[2:3], 0x40
	v_and_b32_e32 v8, 0x3ff, v0
	v_bfe_u32 v0, v0, 20, 10
	s_waitcnt lgkmcnt(0)
	s_bitcmp1_b32 s15, 0
	v_mul_u32_u24_e32 v1, s17, v1
	s_cselect_b32 s0, -1, 0
	v_mov_b32_e32 v16, s11
	s_and_b32 vcc_lo, s0, exec_lo
	s_cselect_b32 s13, s1, s9
	s_lshr_b32 s15, s16, 16
	v_dual_mov_b32 v2, s4 :: v_dual_mov_b32 v15, s10
	s_mul_i32 s15, s15, s17
	s_xor_b32 s10, s0, -1
	v_mad_u32_u24 v1, s15, v8, v1
	v_mov_b32_e32 v5, s13
	v_mov_b32_e32 v3, s5
	s_delay_alu instid0(VALU_DEP_3) | instskip(SKIP_1) | instid1(VALU_DEP_2)
	v_add_lshl_u32 v6, v1, v0, 3
	v_dual_mov_b32 v0, s8 :: v_dual_mov_b32 v1, s9
	v_add_nc_u32_e32 v4, 0x3f0, v6
	ds_store_2addr_b64 v6, v[2:3], v[0:1] offset0:84 offset1:126
	v_add_nc_u32_e32 v0, 0x2a0, v6
	v_cndmask_b32_e64 v4, s8, v4, s0
	flat_load_b64 v[13:14], v[4:5]
	s_cbranch_vccnz .LBB114_2
; %bb.1:
	v_dual_mov_b32 v1, s8 :: v_dual_mov_b32 v2, s9
	flat_load_b64 v[15:16], v[1:2] offset:8
.LBB114_2:
	s_and_b32 s8, s0, exec_lo
	s_cselect_b32 s1, s1, s5
	v_cndmask_b32_e64 v0, s4, v0, s0
	v_dual_mov_b32 v1, s1 :: v_dual_mov_b32 v12, s7
	v_mov_b32_e32 v11, s6
	s_and_not1_b32 vcc_lo, exec_lo, s10
	flat_load_b64 v[9:10], v[0:1]
	s_cbranch_vccnz .LBB114_4
; %bb.3:
	v_dual_mov_b32 v0, s4 :: v_dual_mov_b32 v1, s5
	flat_load_b64 v[11:12], v[0:1] offset:8
.LBB114_4:
	s_waitcnt vmcnt(1) lgkmcnt(1)
	v_cmp_eq_f64_e32 vcc_lo, 0, v[13:14]
	v_cmp_eq_f64_e64 s0, 0, v[15:16]
	s_delay_alu instid0(VALU_DEP_1)
	s_and_b32 s4, vcc_lo, s0
	s_mov_b32 s0, -1
	s_and_saveexec_b32 s1, s4
	s_cbranch_execz .LBB114_6
; %bb.5:
	s_waitcnt vmcnt(0) lgkmcnt(0)
	v_cmp_neq_f64_e32 vcc_lo, 1.0, v[9:10]
	v_cmp_neq_f64_e64 s0, 0, v[11:12]
	s_delay_alu instid0(VALU_DEP_1) | instskip(NEXT) | instid1(SALU_CYCLE_1)
	s_or_b32 s0, vcc_lo, s0
	s_or_not1_b32 s0, s0, exec_lo
.LBB114_6:
	s_or_b32 exec_lo, exec_lo, s1
	s_and_saveexec_b32 s1, s0
	s_cbranch_execz .LBB114_35
; %bb.7:
	v_mul_u32_u24_e32 v0, 0x5556, v8
	s_clause 0x1
	s_load_b32 s4, s[2:3], 0x4
	s_load_b64 s[0:1], s[2:3], 0x18
	s_delay_alu instid0(VALU_DEP_1) | instskip(NEXT) | instid1(VALU_DEP_1)
	v_lshrrev_b32_e32 v0, 16, v0
	v_mul_lo_u16 v0, v0, 3
	s_delay_alu instid0(VALU_DEP_1) | instskip(NEXT) | instid1(VALU_DEP_1)
	v_sub_nc_u16 v0, v8, v0
	v_and_b32_e32 v7, 0xffff, v0
	s_waitcnt lgkmcnt(0)
	s_cmp_lg_u32 s4, 1
	v_and_b32_e32 v5, 0xffff, v8
	s_cselect_b32 s15, -1, 0
	v_mov_b32_e32 v4, v7
	s_and_b32 vcc_lo, exec_lo, s15
	s_cbranch_vccnz .LBB114_9
; %bb.8:
	v_mul_u32_u24_e32 v0, 0x124a, v5
	s_delay_alu instid0(VALU_DEP_1) | instskip(NEXT) | instid1(VALU_DEP_1)
	v_lshrrev_b32_e32 v0, 16, v0
	v_mul_lo_u16 v1, 0x56, v0
	s_delay_alu instid0(VALU_DEP_1) | instskip(NEXT) | instid1(VALU_DEP_1)
	v_lshrrev_b16 v1, 8, v1
	v_mul_lo_u16 v1, v1, 3
	s_delay_alu instid0(VALU_DEP_1) | instskip(NEXT) | instid1(VALU_DEP_1)
	v_sub_nc_u16 v0, v0, v1
	v_and_b32_e32 v4, 0xff, v0
.LBB114_9:
	s_ashr_i32 s13, s12, 31
	v_mov_b32_e32 v2, 0
	s_lshl_b64 s[4:5], s[12:13], 2
	v_mov_b32_e32 v3, 0
	s_add_u32 s0, s0, s4
	s_addc_u32 s1, s1, s5
	v_mov_b32_e32 v0, v2
	s_load_b64 s[10:11], s[0:1], 0x0
	s_load_b64 s[8:9], s[2:3], 0x50
	v_mov_b32_e32 v1, v3
	s_waitcnt lgkmcnt(0)
	s_cmp_ge_i32 s10, s11
	s_cbranch_scc1 .LBB114_14
; %bb.10:
	s_clause 0x1
	s_load_b128 s[4:7], s[2:3], 0x20
	s_load_b64 s[0:1], s[2:3], 0x38
	s_waitcnt vmcnt(0)
	v_mad_u64_u32 v[0:1], null, s10, 42, v[8:9]
	v_mov_b32_e32 v2, 0
	v_mul_u32_u24_e32 v1, 0x619, v5
	v_dual_mov_b32 v3, 0 :: v_dual_mov_b32 v6, 0
	s_mul_i32 s2, s14, 42
	s_sub_i32 s3, s10, s14
	s_delay_alu instid0(VALU_DEP_2)
	v_lshrrev_b32_e32 v19, 16, v1
	v_subrev_nc_u32_e32 v5, s2, v0
	v_dual_mov_b32 v0, v2 :: v_dual_mov_b32 v1, v3
	s_sub_i32 s2, s11, s14
	s_set_inst_prefetch_distance 0x1
	s_branch .LBB114_12
	.p2align	6
.LBB114_11:                             ;   in Loop: Header=BB114_12 Depth=1
	s_or_b32 exec_lo, exec_lo, s10
	v_add_nc_u32_e32 v5, 42, v5
	s_add_i32 s3, s3, 1
	s_delay_alu instid0(SALU_CYCLE_1)
	s_cmp_ge_i32 s3, s2
	s_cbranch_scc1 .LBB114_14
.LBB114_12:                             ; =>This Inner Loop Header: Depth=1
	v_add_nc_u32_e32 v17, s3, v19
	s_mov_b32 s10, exec_lo
	s_delay_alu instid0(VALU_DEP_1)
	v_cmpx_gt_i32_e64 s2, v17
	s_cbranch_execz .LBB114_11
; %bb.13:                               ;   in Loop: Header=BB114_12 Depth=1
	v_ashrrev_i32_e32 v18, 31, v17
	s_delay_alu instid0(VALU_DEP_1) | instskip(SKIP_1) | instid1(VALU_DEP_1)
	v_lshlrev_b64 v[17:18], 2, v[17:18]
	s_waitcnt lgkmcnt(0)
	v_add_co_u32 v17, vcc_lo, s4, v17
	s_delay_alu instid0(VALU_DEP_2) | instskip(SKIP_3) | instid1(VALU_DEP_1)
	v_add_co_ci_u32_e32 v18, vcc_lo, s5, v18, vcc_lo
	global_load_b32 v17, v[17:18], off
	s_waitcnt vmcnt(0)
	v_subrev_nc_u32_e32 v20, s14, v17
	v_mad_u64_u32 v[17:18], null, v20, 3, v[4:5]
	v_lshlrev_b64 v[20:21], 4, v[5:6]
	s_delay_alu instid0(VALU_DEP_1) | instskip(NEXT) | instid1(VALU_DEP_3)
	v_add_co_u32 v20, vcc_lo, s6, v20
	v_ashrrev_i32_e32 v18, 31, v17
	s_delay_alu instid0(VALU_DEP_3) | instskip(NEXT) | instid1(VALU_DEP_2)
	v_add_co_ci_u32_e32 v21, vcc_lo, s7, v21, vcc_lo
	v_lshlrev_b64 v[17:18], 4, v[17:18]
	s_delay_alu instid0(VALU_DEP_1) | instskip(NEXT) | instid1(VALU_DEP_2)
	v_add_co_u32 v17, vcc_lo, s0, v17
	v_add_co_ci_u32_e32 v18, vcc_lo, s1, v18, vcc_lo
	global_load_b128 v[20:23], v[20:21], off
	global_load_b128 v[24:27], v[17:18], off
	s_waitcnt vmcnt(0)
	v_fma_f64 v[0:1], v[20:21], v[24:25], v[0:1]
	v_fma_f64 v[2:3], v[22:23], v[24:25], v[2:3]
	s_delay_alu instid0(VALU_DEP_2) | instskip(NEXT) | instid1(VALU_DEP_2)
	v_fma_f64 v[0:1], -v[22:23], v[26:27], v[0:1]
	v_fma_f64 v[2:3], v[20:21], v[26:27], v[2:3]
	s_branch .LBB114_11
.LBB114_14:
	s_set_inst_prefetch_distance 0x2
	v_lshlrev_b32_e32 v17, 4, v8
	s_and_b32 vcc_lo, exec_lo, s15
	ds_store_b128 v17, v[0:3]
	s_waitcnt vmcnt(0) lgkmcnt(0)
	s_barrier
	buffer_gl0_inv
	s_cbranch_vccz .LBB114_22
; %bb.15:
	v_cmp_eq_u16_e32 vcc_lo, 0, v7
	s_and_saveexec_b32 s0, vcc_lo
	s_cbranch_execz .LBB114_17
; %bb.16:
	ds_load_b128 v[4:7], v17
	ds_load_b128 v[18:21], v17 offset:32
	s_waitcnt lgkmcnt(0)
	v_add_f64 v[4:5], v[18:19], v[4:5]
	v_add_f64 v[6:7], v[20:21], v[6:7]
	ds_store_b128 v17, v[4:7]
.LBB114_17:
	s_or_b32 exec_lo, exec_lo, s0
	s_waitcnt lgkmcnt(0)
	s_barrier
	buffer_gl0_inv
	s_and_saveexec_b32 s0, vcc_lo
	s_cbranch_execz .LBB114_19
; %bb.18:
	ds_load_b128 v[4:7], v17
	ds_load_b128 v[18:21], v17 offset:16
	s_waitcnt lgkmcnt(0)
	v_add_f64 v[4:5], v[18:19], v[4:5]
	v_add_f64 v[6:7], v[20:21], v[6:7]
	ds_store_b128 v17, v[4:7]
.LBB114_19:
	s_or_b32 exec_lo, exec_lo, s0
	v_dual_mov_b32 v7, v3 :: v_dual_mov_b32 v6, v2
	v_dual_mov_b32 v5, v1 :: v_dual_mov_b32 v4, v0
	s_mov_b32 s0, exec_lo
	s_waitcnt lgkmcnt(0)
	s_barrier
	buffer_gl0_inv
	v_cmpx_gt_u32_e32 14, v8
	s_cbranch_execz .LBB114_21
; %bb.20:
	v_lshl_add_u32 v4, v8, 5, v17
	ds_load_b128 v[4:7], v4
.LBB114_21:
	s_or_b32 exec_lo, exec_lo, s0
	v_cmp_gt_u32_e64 s0, 14, v8
	s_branch .LBB114_30
.LBB114_22:
                                        ; implicit-def: $vgpr6_vgpr7
	v_cmp_gt_u32_e64 s0, 14, v8
	s_cbranch_execz .LBB114_30
; %bb.23:
	v_cmp_lt_u32_e32 vcc_lo, 13, v8
	s_delay_alu instid0(VALU_DEP_2)
	s_and_saveexec_b32 s1, s0
	s_cbranch_execz .LBB114_25
; %bb.24:
	s_waitcnt lgkmcnt(0)
	ds_load_b128 v[4:7], v17 offset:448
	ds_load_b128 v[18:21], v17
	s_waitcnt lgkmcnt(0)
	v_add_f64 v[4:5], v[4:5], v[18:19]
	v_add_f64 v[6:7], v[6:7], v[20:21]
	ds_store_b128 v17, v[4:7]
.LBB114_25:
	s_or_b32 exec_lo, exec_lo, s1
	s_waitcnt lgkmcnt(0)
	s_barrier
	buffer_gl0_inv
	s_and_saveexec_b32 s0, vcc_lo
	s_delay_alu instid0(SALU_CYCLE_1)
	s_xor_b32 s0, exec_lo, s0
	s_cbranch_execz .LBB114_27
; %bb.26:
	buffer_gl0_inv
                                        ; implicit-def: $vgpr17
.LBB114_27:
	s_and_not1_saveexec_b32 s0, s0
	s_cbranch_execz .LBB114_29
; %bb.28:
	ds_load_b128 v[0:3], v17 offset:224
	ds_load_b128 v[4:7], v17
	s_waitcnt lgkmcnt(0)
	v_add_f64 v[0:1], v[0:1], v[4:5]
	v_add_f64 v[2:3], v[2:3], v[6:7]
	ds_store_b128 v17, v[0:3]
	s_waitcnt lgkmcnt(0)
	buffer_gl0_inv
	ds_load_b128 v[0:3], v17
.LBB114_29:
	s_or_b32 exec_lo, exec_lo, s0
	s_waitcnt lgkmcnt(0)
	v_dual_mov_b32 v7, v3 :: v_dual_mov_b32 v6, v2
	v_dual_mov_b32 v5, v1 :: v_dual_mov_b32 v4, v0
.LBB114_30:
	v_cmp_gt_u32_e32 vcc_lo, 14, v8
	s_and_b32 exec_lo, exec_lo, vcc_lo
	s_cbranch_execz .LBB114_35
; %bb.31:
	s_waitcnt lgkmcnt(0)
	v_mul_f64 v[0:1], v[6:7], -v[15:16]
	v_mul_f64 v[2:3], v[13:14], v[6:7]
	v_cmp_eq_f64_e32 vcc_lo, 0, v[9:10]
	v_cmp_eq_f64_e64 s0, 0, v[11:12]
	s_delay_alu instid0(VALU_DEP_4) | instskip(NEXT) | instid1(VALU_DEP_4)
	v_fma_f64 v[0:1], v[13:14], v[4:5], v[0:1]
	v_fma_f64 v[2:3], v[15:16], v[4:5], v[2:3]
	s_delay_alu instid0(VALU_DEP_3) | instskip(NEXT) | instid1(SALU_CYCLE_1)
	s_and_b32 s0, vcc_lo, s0
	s_and_saveexec_b32 s1, s0
	s_delay_alu instid0(SALU_CYCLE_1)
	s_xor_b32 s0, exec_lo, s1
	s_cbranch_execz .LBB114_33
; %bb.32:
	v_mad_u64_u32 v[4:5], null, s12, 14, v[8:9]
	v_mov_b32_e32 v5, 0
                                        ; implicit-def: $vgpr8
                                        ; implicit-def: $vgpr9_vgpr10
                                        ; implicit-def: $vgpr11_vgpr12
	s_delay_alu instid0(VALU_DEP_1) | instskip(NEXT) | instid1(VALU_DEP_1)
	v_lshlrev_b64 v[4:5], 4, v[4:5]
	v_add_co_u32 v4, vcc_lo, s8, v4
	s_delay_alu instid0(VALU_DEP_2)
	v_add_co_ci_u32_e32 v5, vcc_lo, s9, v5, vcc_lo
	global_store_b128 v[4:5], v[0:3], off
                                        ; implicit-def: $vgpr0_vgpr1
.LBB114_33:
	s_and_not1_saveexec_b32 s0, s0
	s_cbranch_execz .LBB114_35
; %bb.34:
	v_mad_u64_u32 v[4:5], null, s12, 14, v[8:9]
	v_mov_b32_e32 v5, 0
	s_delay_alu instid0(VALU_DEP_1) | instskip(NEXT) | instid1(VALU_DEP_1)
	v_lshlrev_b64 v[4:5], 4, v[4:5]
	v_add_co_u32 v13, vcc_lo, s8, v4
	s_delay_alu instid0(VALU_DEP_2) | instskip(SKIP_4) | instid1(VALU_DEP_2)
	v_add_co_ci_u32_e32 v14, vcc_lo, s9, v5, vcc_lo
	global_load_b128 v[4:7], v[13:14], off
	s_waitcnt vmcnt(0)
	v_fma_f64 v[0:1], v[9:10], v[4:5], v[0:1]
	v_fma_f64 v[2:3], v[11:12], v[4:5], v[2:3]
	v_fma_f64 v[0:1], -v[11:12], v[6:7], v[0:1]
	s_delay_alu instid0(VALU_DEP_2)
	v_fma_f64 v[2:3], v[9:10], v[6:7], v[2:3]
	global_store_b128 v[13:14], v[0:3], off
.LBB114_35:
	s_nop 0
	s_sendmsg sendmsg(MSG_DEALLOC_VGPRS)
	s_endpgm
	.section	.rodata,"a",@progbits
	.p2align	6, 0x0
	.amdhsa_kernel _ZN9rocsparseL22gebsrmvn_mxn_16_kernelILj42ELj14ELj3E21rocsparse_complex_numIdEEEvi20rocsparse_direction_NS_24const_host_device_scalarIT2_EEPKiS8_PKS5_iiSA_S6_PS5_21rocsparse_index_base_b
		.amdhsa_group_segment_fixed_size 1344
		.amdhsa_private_segment_fixed_size 0
		.amdhsa_kernarg_size 96
		.amdhsa_user_sgpr_count 15
		.amdhsa_user_sgpr_dispatch_ptr 1
		.amdhsa_user_sgpr_queue_ptr 0
		.amdhsa_user_sgpr_kernarg_segment_ptr 1
		.amdhsa_user_sgpr_dispatch_id 0
		.amdhsa_user_sgpr_private_segment_size 0
		.amdhsa_wavefront_size32 1
		.amdhsa_uses_dynamic_stack 0
		.amdhsa_enable_private_segment 0
		.amdhsa_system_sgpr_workgroup_id_x 1
		.amdhsa_system_sgpr_workgroup_id_y 0
		.amdhsa_system_sgpr_workgroup_id_z 0
		.amdhsa_system_sgpr_workgroup_info 0
		.amdhsa_system_vgpr_workitem_id 2
		.amdhsa_next_free_vgpr 28
		.amdhsa_next_free_sgpr 18
		.amdhsa_reserve_vcc 1
		.amdhsa_float_round_mode_32 0
		.amdhsa_float_round_mode_16_64 0
		.amdhsa_float_denorm_mode_32 3
		.amdhsa_float_denorm_mode_16_64 3
		.amdhsa_dx10_clamp 1
		.amdhsa_ieee_mode 1
		.amdhsa_fp16_overflow 0
		.amdhsa_workgroup_processor_mode 1
		.amdhsa_memory_ordered 1
		.amdhsa_forward_progress 0
		.amdhsa_shared_vgpr_count 0
		.amdhsa_exception_fp_ieee_invalid_op 0
		.amdhsa_exception_fp_denorm_src 0
		.amdhsa_exception_fp_ieee_div_zero 0
		.amdhsa_exception_fp_ieee_overflow 0
		.amdhsa_exception_fp_ieee_underflow 0
		.amdhsa_exception_fp_ieee_inexact 0
		.amdhsa_exception_int_div_zero 0
	.end_amdhsa_kernel
	.section	.text._ZN9rocsparseL22gebsrmvn_mxn_16_kernelILj42ELj14ELj3E21rocsparse_complex_numIdEEEvi20rocsparse_direction_NS_24const_host_device_scalarIT2_EEPKiS8_PKS5_iiSA_S6_PS5_21rocsparse_index_base_b,"axG",@progbits,_ZN9rocsparseL22gebsrmvn_mxn_16_kernelILj42ELj14ELj3E21rocsparse_complex_numIdEEEvi20rocsparse_direction_NS_24const_host_device_scalarIT2_EEPKiS8_PKS5_iiSA_S6_PS5_21rocsparse_index_base_b,comdat
.Lfunc_end114:
	.size	_ZN9rocsparseL22gebsrmvn_mxn_16_kernelILj42ELj14ELj3E21rocsparse_complex_numIdEEEvi20rocsparse_direction_NS_24const_host_device_scalarIT2_EEPKiS8_PKS5_iiSA_S6_PS5_21rocsparse_index_base_b, .Lfunc_end114-_ZN9rocsparseL22gebsrmvn_mxn_16_kernelILj42ELj14ELj3E21rocsparse_complex_numIdEEEvi20rocsparse_direction_NS_24const_host_device_scalarIT2_EEPKiS8_PKS5_iiSA_S6_PS5_21rocsparse_index_base_b
                                        ; -- End function
	.section	.AMDGPU.csdata,"",@progbits
; Kernel info:
; codeLenInByte = 1600
; NumSgprs: 20
; NumVgprs: 28
; ScratchSize: 0
; MemoryBound: 0
; FloatMode: 240
; IeeeMode: 1
; LDSByteSize: 1344 bytes/workgroup (compile time only)
; SGPRBlocks: 2
; VGPRBlocks: 3
; NumSGPRsForWavesPerEU: 20
; NumVGPRsForWavesPerEU: 28
; Occupancy: 16
; WaveLimiterHint : 1
; COMPUTE_PGM_RSRC2:SCRATCH_EN: 0
; COMPUTE_PGM_RSRC2:USER_SGPR: 15
; COMPUTE_PGM_RSRC2:TRAP_HANDLER: 0
; COMPUTE_PGM_RSRC2:TGID_X_EN: 1
; COMPUTE_PGM_RSRC2:TGID_Y_EN: 0
; COMPUTE_PGM_RSRC2:TGID_Z_EN: 0
; COMPUTE_PGM_RSRC2:TIDIG_COMP_CNT: 2
	.section	.text._ZN9rocsparseL22gebsrmvn_mxn_16_kernelILj56ELj14ELj4E21rocsparse_complex_numIdEEEvi20rocsparse_direction_NS_24const_host_device_scalarIT2_EEPKiS8_PKS5_iiSA_S6_PS5_21rocsparse_index_base_b,"axG",@progbits,_ZN9rocsparseL22gebsrmvn_mxn_16_kernelILj56ELj14ELj4E21rocsparse_complex_numIdEEEvi20rocsparse_direction_NS_24const_host_device_scalarIT2_EEPKiS8_PKS5_iiSA_S6_PS5_21rocsparse_index_base_b,comdat
	.globl	_ZN9rocsparseL22gebsrmvn_mxn_16_kernelILj56ELj14ELj4E21rocsparse_complex_numIdEEEvi20rocsparse_direction_NS_24const_host_device_scalarIT2_EEPKiS8_PKS5_iiSA_S6_PS5_21rocsparse_index_base_b ; -- Begin function _ZN9rocsparseL22gebsrmvn_mxn_16_kernelILj56ELj14ELj4E21rocsparse_complex_numIdEEEvi20rocsparse_direction_NS_24const_host_device_scalarIT2_EEPKiS8_PKS5_iiSA_S6_PS5_21rocsparse_index_base_b
	.p2align	8
	.type	_ZN9rocsparseL22gebsrmvn_mxn_16_kernelILj56ELj14ELj4E21rocsparse_complex_numIdEEEvi20rocsparse_direction_NS_24const_host_device_scalarIT2_EEPKiS8_PKS5_iiSA_S6_PS5_21rocsparse_index_base_b,@function
_ZN9rocsparseL22gebsrmvn_mxn_16_kernelILj56ELj14ELj4E21rocsparse_complex_numIdEEEvi20rocsparse_direction_NS_24const_host_device_scalarIT2_EEPKiS8_PKS5_iiSA_S6_PS5_21rocsparse_index_base_b: ; @_ZN9rocsparseL22gebsrmvn_mxn_16_kernelILj56ELj14ELj4E21rocsparse_complex_numIdEEEvi20rocsparse_direction_NS_24const_host_device_scalarIT2_EEPKiS8_PKS5_iiSA_S6_PS5_21rocsparse_index_base_b
; %bb.0:
	s_mov_b32 s12, s15
	s_load_b64 s[14:15], s[2:3], 0x58
	s_load_b64 s[16:17], s[0:1], 0x4
	s_load_b128 s[8:11], s[2:3], 0x8
	v_bfe_u32 v1, v0, 10, 10
	s_mov_b64 s[0:1], src_shared_base
	s_load_b128 s[4:7], s[2:3], 0x40
	v_and_b32_e32 v8, 0x3ff, v0
	v_bfe_u32 v0, v0, 20, 10
	s_waitcnt lgkmcnt(0)
	s_bitcmp1_b32 s15, 0
	v_mul_u32_u24_e32 v1, s17, v1
	s_cselect_b32 s0, -1, 0
	v_mov_b32_e32 v16, s11
	s_and_b32 vcc_lo, s0, exec_lo
	s_cselect_b32 s13, s1, s9
	s_lshr_b32 s15, s16, 16
	v_dual_mov_b32 v2, s4 :: v_dual_mov_b32 v15, s10
	s_mul_i32 s15, s15, s17
	s_xor_b32 s10, s0, -1
	v_mad_u32_u24 v1, s15, v8, v1
	v_mov_b32_e32 v5, s13
	v_mov_b32_e32 v3, s5
	s_delay_alu instid0(VALU_DEP_3) | instskip(SKIP_1) | instid1(VALU_DEP_2)
	v_add_lshl_u32 v6, v1, v0, 3
	v_dual_mov_b32 v0, s8 :: v_dual_mov_b32 v1, s9
	v_add_nc_u32_e32 v4, 0x540, v6
	ds_store_2addr_b64 v6, v[2:3], v[0:1] offset0:112 offset1:168
	v_add_nc_u32_e32 v0, 0x380, v6
	v_cndmask_b32_e64 v4, s8, v4, s0
	flat_load_b64 v[13:14], v[4:5]
	s_cbranch_vccnz .LBB115_2
; %bb.1:
	v_dual_mov_b32 v1, s8 :: v_dual_mov_b32 v2, s9
	flat_load_b64 v[15:16], v[1:2] offset:8
.LBB115_2:
	s_and_b32 s8, s0, exec_lo
	s_cselect_b32 s1, s1, s5
	v_cndmask_b32_e64 v0, s4, v0, s0
	v_dual_mov_b32 v1, s1 :: v_dual_mov_b32 v12, s7
	v_mov_b32_e32 v11, s6
	s_and_not1_b32 vcc_lo, exec_lo, s10
	flat_load_b64 v[9:10], v[0:1]
	s_cbranch_vccnz .LBB115_4
; %bb.3:
	v_dual_mov_b32 v0, s4 :: v_dual_mov_b32 v1, s5
	flat_load_b64 v[11:12], v[0:1] offset:8
.LBB115_4:
	s_waitcnt vmcnt(1) lgkmcnt(1)
	v_cmp_eq_f64_e32 vcc_lo, 0, v[13:14]
	v_cmp_eq_f64_e64 s0, 0, v[15:16]
	s_delay_alu instid0(VALU_DEP_1)
	s_and_b32 s4, vcc_lo, s0
	s_mov_b32 s0, -1
	s_and_saveexec_b32 s1, s4
	s_cbranch_execz .LBB115_6
; %bb.5:
	s_waitcnt vmcnt(0) lgkmcnt(0)
	v_cmp_neq_f64_e32 vcc_lo, 1.0, v[9:10]
	v_cmp_neq_f64_e64 s0, 0, v[11:12]
	s_delay_alu instid0(VALU_DEP_1) | instskip(NEXT) | instid1(SALU_CYCLE_1)
	s_or_b32 s0, vcc_lo, s0
	s_or_not1_b32 s0, s0, exec_lo
.LBB115_6:
	s_or_b32 exec_lo, exec_lo, s1
	s_and_saveexec_b32 s1, s0
	s_cbranch_execz .LBB115_35
; %bb.7:
	s_clause 0x1
	s_load_b32 s4, s[2:3], 0x4
	s_load_b64 s[0:1], s[2:3], 0x18
	v_and_b32_e32 v18, 3, v8
	s_delay_alu instid0(VALU_DEP_1) | instskip(SKIP_3) | instid1(SALU_CYCLE_1)
	v_mov_b32_e32 v17, v18
	s_waitcnt lgkmcnt(0)
	s_cmp_lg_u32 s4, 1
	s_cselect_b32 s15, -1, 0
	s_and_b32 vcc_lo, exec_lo, s15
	s_cbranch_vccnz .LBB115_9
; %bb.8:
	v_mul_u32_u24_e32 v0, 0x124a, v8
	s_delay_alu instid0(VALU_DEP_1)
	v_bfe_u32 v17, v0, 16, 2
.LBB115_9:
	s_ashr_i32 s13, s12, 31
	v_mov_b32_e32 v2, 0
	s_lshl_b64 s[4:5], s[12:13], 2
	v_mov_b32_e32 v3, 0
	s_add_u32 s0, s0, s4
	s_addc_u32 s1, s1, s5
	v_mov_b32_e32 v0, v2
	s_load_b64 s[10:11], s[0:1], 0x0
	s_load_b64 s[8:9], s[2:3], 0x50
	v_mov_b32_e32 v1, v3
	s_waitcnt lgkmcnt(0)
	s_cmp_ge_i32 s10, s11
	s_cbranch_scc1 .LBB115_14
; %bb.10:
	s_clause 0x1
	s_load_b128 s[4:7], s[2:3], 0x20
	s_load_b64 s[0:1], s[2:3], 0x38
	s_waitcnt vmcnt(0)
	v_mad_u64_u32 v[0:1], null, s10, 56, v[8:9]
	v_dual_mov_b32 v2, 0 :: v_dual_mov_b32 v5, 0
	v_mul_u32_u24_e32 v1, 0x493, v8
	v_mov_b32_e32 v3, 0
	s_mul_i32 s2, s14, 56
	s_sub_i32 s3, s10, s14
	s_delay_alu instid0(VALU_DEP_4)
	v_subrev_nc_u32_e32 v4, s2, v0
	v_lshrrev_b32_e32 v19, 16, v1
	v_dual_mov_b32 v0, v2 :: v_dual_mov_b32 v1, v3
	s_sub_i32 s2, s11, s14
	s_set_inst_prefetch_distance 0x1
	s_branch .LBB115_12
	.p2align	6
.LBB115_11:                             ;   in Loop: Header=BB115_12 Depth=1
	s_or_b32 exec_lo, exec_lo, s10
	v_add_nc_u32_e32 v4, 56, v4
	s_add_i32 s3, s3, 1
	s_delay_alu instid0(SALU_CYCLE_1)
	s_cmp_ge_i32 s3, s2
	s_cbranch_scc1 .LBB115_14
.LBB115_12:                             ; =>This Inner Loop Header: Depth=1
	v_add_nc_u32_e32 v6, s3, v19
	s_mov_b32 s10, exec_lo
	s_delay_alu instid0(VALU_DEP_1)
	v_cmpx_gt_i32_e64 s2, v6
	s_cbranch_execz .LBB115_11
; %bb.13:                               ;   in Loop: Header=BB115_12 Depth=1
	v_ashrrev_i32_e32 v7, 31, v6
	v_lshlrev_b64 v[20:21], 4, v[4:5]
	s_delay_alu instid0(VALU_DEP_2) | instskip(SKIP_1) | instid1(VALU_DEP_1)
	v_lshlrev_b64 v[6:7], 2, v[6:7]
	s_waitcnt lgkmcnt(0)
	v_add_co_u32 v6, vcc_lo, s4, v6
	s_delay_alu instid0(VALU_DEP_2) | instskip(NEXT) | instid1(VALU_DEP_4)
	v_add_co_ci_u32_e32 v7, vcc_lo, s5, v7, vcc_lo
	v_add_co_u32 v20, vcc_lo, s6, v20
	v_add_co_ci_u32_e32 v21, vcc_lo, s7, v21, vcc_lo
	global_load_b32 v6, v[6:7], off
	s_waitcnt vmcnt(0)
	v_subrev_nc_u32_e32 v6, s14, v6
	s_delay_alu instid0(VALU_DEP_1) | instskip(NEXT) | instid1(VALU_DEP_1)
	v_lshl_or_b32 v6, v6, 2, v17
	v_ashrrev_i32_e32 v7, 31, v6
	s_delay_alu instid0(VALU_DEP_1) | instskip(NEXT) | instid1(VALU_DEP_1)
	v_lshlrev_b64 v[6:7], 4, v[6:7]
	v_add_co_u32 v6, vcc_lo, s0, v6
	s_delay_alu instid0(VALU_DEP_2)
	v_add_co_ci_u32_e32 v7, vcc_lo, s1, v7, vcc_lo
	global_load_b128 v[20:23], v[20:21], off
	global_load_b128 v[24:27], v[6:7], off
	s_waitcnt vmcnt(0)
	v_fma_f64 v[0:1], v[20:21], v[24:25], v[0:1]
	v_fma_f64 v[2:3], v[22:23], v[24:25], v[2:3]
	s_delay_alu instid0(VALU_DEP_2) | instskip(NEXT) | instid1(VALU_DEP_2)
	v_fma_f64 v[0:1], -v[22:23], v[26:27], v[0:1]
	v_fma_f64 v[2:3], v[20:21], v[26:27], v[2:3]
	s_branch .LBB115_11
.LBB115_14:
	s_set_inst_prefetch_distance 0x2
	v_lshlrev_b32_e32 v17, 4, v8
	s_and_b32 vcc_lo, exec_lo, s15
	ds_store_b128 v17, v[0:3]
	s_waitcnt vmcnt(0) lgkmcnt(0)
	s_barrier
	buffer_gl0_inv
	s_cbranch_vccz .LBB115_22
; %bb.15:
	s_mov_b32 s0, exec_lo
	v_cmpx_gt_u32_e32 2, v18
	s_cbranch_execz .LBB115_17
; %bb.16:
	ds_load_b128 v[4:7], v17
	ds_load_b128 v[19:22], v17 offset:32
	s_waitcnt lgkmcnt(0)
	v_add_f64 v[4:5], v[19:20], v[4:5]
	v_add_f64 v[6:7], v[21:22], v[6:7]
	ds_store_b128 v17, v[4:7]
.LBB115_17:
	s_or_b32 exec_lo, exec_lo, s0
	s_delay_alu instid0(SALU_CYCLE_1)
	s_mov_b32 s0, exec_lo
	s_waitcnt lgkmcnt(0)
	s_barrier
	buffer_gl0_inv
	v_cmpx_eq_u32_e32 0, v18
	s_cbranch_execz .LBB115_19
; %bb.18:
	ds_load_b128 v[4:7], v17
	ds_load_b128 v[18:21], v17 offset:16
	s_waitcnt lgkmcnt(0)
	v_add_f64 v[4:5], v[18:19], v[4:5]
	v_add_f64 v[6:7], v[20:21], v[6:7]
	ds_store_b128 v17, v[4:7]
.LBB115_19:
	s_or_b32 exec_lo, exec_lo, s0
	v_dual_mov_b32 v7, v3 :: v_dual_mov_b32 v6, v2
	v_dual_mov_b32 v5, v1 :: v_dual_mov_b32 v4, v0
	s_mov_b32 s0, exec_lo
	s_waitcnt lgkmcnt(0)
	s_barrier
	buffer_gl0_inv
	v_cmpx_gt_u32_e32 14, v8
	s_cbranch_execz .LBB115_21
; %bb.20:
	v_mad_u32_u24 v4, v8, 48, v17
	ds_load_b128 v[4:7], v4
.LBB115_21:
	s_or_b32 exec_lo, exec_lo, s0
	s_branch .LBB115_30
.LBB115_22:
                                        ; implicit-def: $vgpr6_vgpr7
	s_cbranch_execz .LBB115_30
; %bb.23:
	s_mov_b32 s0, exec_lo
	v_cmpx_gt_u32_e32 28, v8
	s_cbranch_execz .LBB115_25
; %bb.24:
	s_waitcnt lgkmcnt(0)
	ds_load_b128 v[4:7], v17 offset:448
	ds_load_b128 v[18:21], v17
	s_waitcnt lgkmcnt(0)
	v_add_f64 v[4:5], v[4:5], v[18:19]
	v_add_f64 v[6:7], v[6:7], v[20:21]
	ds_store_b128 v17, v[4:7]
.LBB115_25:
	s_or_b32 exec_lo, exec_lo, s0
	s_delay_alu instid0(SALU_CYCLE_1)
	s_mov_b32 s0, exec_lo
	s_waitcnt lgkmcnt(0)
	buffer_gl0_inv
	v_cmpx_lt_u32_e32 13, v8
	s_xor_b32 s0, exec_lo, s0
	s_cbranch_execz .LBB115_27
; %bb.26:
	buffer_gl0_inv
                                        ; implicit-def: $vgpr17
.LBB115_27:
	s_and_not1_saveexec_b32 s0, s0
	s_cbranch_execz .LBB115_29
; %bb.28:
	ds_load_b128 v[0:3], v17 offset:224
	ds_load_b128 v[4:7], v17
	s_waitcnt lgkmcnt(0)
	v_add_f64 v[0:1], v[0:1], v[4:5]
	v_add_f64 v[2:3], v[2:3], v[6:7]
	ds_store_b128 v17, v[0:3]
	s_waitcnt lgkmcnt(0)
	buffer_gl0_inv
	ds_load_b128 v[0:3], v17
.LBB115_29:
	s_or_b32 exec_lo, exec_lo, s0
	s_waitcnt lgkmcnt(0)
	v_dual_mov_b32 v7, v3 :: v_dual_mov_b32 v6, v2
	v_dual_mov_b32 v5, v1 :: v_dual_mov_b32 v4, v0
.LBB115_30:
	v_cmp_gt_u32_e32 vcc_lo, 14, v8
	s_and_b32 exec_lo, exec_lo, vcc_lo
	s_cbranch_execz .LBB115_35
; %bb.31:
	s_waitcnt lgkmcnt(0)
	v_mul_f64 v[0:1], v[6:7], -v[15:16]
	v_mul_f64 v[2:3], v[13:14], v[6:7]
	v_cmp_eq_f64_e32 vcc_lo, 0, v[9:10]
	v_cmp_eq_f64_e64 s0, 0, v[11:12]
	s_delay_alu instid0(VALU_DEP_4) | instskip(NEXT) | instid1(VALU_DEP_4)
	v_fma_f64 v[0:1], v[13:14], v[4:5], v[0:1]
	v_fma_f64 v[2:3], v[15:16], v[4:5], v[2:3]
	s_delay_alu instid0(VALU_DEP_3) | instskip(NEXT) | instid1(SALU_CYCLE_1)
	s_and_b32 s0, vcc_lo, s0
	s_and_saveexec_b32 s1, s0
	s_delay_alu instid0(SALU_CYCLE_1)
	s_xor_b32 s0, exec_lo, s1
	s_cbranch_execz .LBB115_33
; %bb.32:
	v_mad_u64_u32 v[4:5], null, s12, 14, v[8:9]
	v_mov_b32_e32 v5, 0
                                        ; implicit-def: $vgpr8
                                        ; implicit-def: $vgpr9_vgpr10
                                        ; implicit-def: $vgpr11_vgpr12
	s_delay_alu instid0(VALU_DEP_1) | instskip(NEXT) | instid1(VALU_DEP_1)
	v_lshlrev_b64 v[4:5], 4, v[4:5]
	v_add_co_u32 v4, vcc_lo, s8, v4
	s_delay_alu instid0(VALU_DEP_2)
	v_add_co_ci_u32_e32 v5, vcc_lo, s9, v5, vcc_lo
	global_store_b128 v[4:5], v[0:3], off
                                        ; implicit-def: $vgpr0_vgpr1
.LBB115_33:
	s_and_not1_saveexec_b32 s0, s0
	s_cbranch_execz .LBB115_35
; %bb.34:
	v_mad_u64_u32 v[4:5], null, s12, 14, v[8:9]
	v_mov_b32_e32 v5, 0
	s_delay_alu instid0(VALU_DEP_1) | instskip(NEXT) | instid1(VALU_DEP_1)
	v_lshlrev_b64 v[4:5], 4, v[4:5]
	v_add_co_u32 v13, vcc_lo, s8, v4
	s_delay_alu instid0(VALU_DEP_2) | instskip(SKIP_4) | instid1(VALU_DEP_2)
	v_add_co_ci_u32_e32 v14, vcc_lo, s9, v5, vcc_lo
	global_load_b128 v[4:7], v[13:14], off
	s_waitcnt vmcnt(0)
	v_fma_f64 v[0:1], v[9:10], v[4:5], v[0:1]
	v_fma_f64 v[2:3], v[11:12], v[4:5], v[2:3]
	v_fma_f64 v[0:1], -v[11:12], v[6:7], v[0:1]
	s_delay_alu instid0(VALU_DEP_2)
	v_fma_f64 v[2:3], v[9:10], v[6:7], v[2:3]
	global_store_b128 v[13:14], v[0:3], off
.LBB115_35:
	s_nop 0
	s_sendmsg sendmsg(MSG_DEALLOC_VGPRS)
	s_endpgm
	.section	.rodata,"a",@progbits
	.p2align	6, 0x0
	.amdhsa_kernel _ZN9rocsparseL22gebsrmvn_mxn_16_kernelILj56ELj14ELj4E21rocsparse_complex_numIdEEEvi20rocsparse_direction_NS_24const_host_device_scalarIT2_EEPKiS8_PKS5_iiSA_S6_PS5_21rocsparse_index_base_b
		.amdhsa_group_segment_fixed_size 1792
		.amdhsa_private_segment_fixed_size 0
		.amdhsa_kernarg_size 96
		.amdhsa_user_sgpr_count 15
		.amdhsa_user_sgpr_dispatch_ptr 1
		.amdhsa_user_sgpr_queue_ptr 0
		.amdhsa_user_sgpr_kernarg_segment_ptr 1
		.amdhsa_user_sgpr_dispatch_id 0
		.amdhsa_user_sgpr_private_segment_size 0
		.amdhsa_wavefront_size32 1
		.amdhsa_uses_dynamic_stack 0
		.amdhsa_enable_private_segment 0
		.amdhsa_system_sgpr_workgroup_id_x 1
		.amdhsa_system_sgpr_workgroup_id_y 0
		.amdhsa_system_sgpr_workgroup_id_z 0
		.amdhsa_system_sgpr_workgroup_info 0
		.amdhsa_system_vgpr_workitem_id 2
		.amdhsa_next_free_vgpr 28
		.amdhsa_next_free_sgpr 18
		.amdhsa_reserve_vcc 1
		.amdhsa_float_round_mode_32 0
		.amdhsa_float_round_mode_16_64 0
		.amdhsa_float_denorm_mode_32 3
		.amdhsa_float_denorm_mode_16_64 3
		.amdhsa_dx10_clamp 1
		.amdhsa_ieee_mode 1
		.amdhsa_fp16_overflow 0
		.amdhsa_workgroup_processor_mode 1
		.amdhsa_memory_ordered 1
		.amdhsa_forward_progress 0
		.amdhsa_shared_vgpr_count 0
		.amdhsa_exception_fp_ieee_invalid_op 0
		.amdhsa_exception_fp_denorm_src 0
		.amdhsa_exception_fp_ieee_div_zero 0
		.amdhsa_exception_fp_ieee_overflow 0
		.amdhsa_exception_fp_ieee_underflow 0
		.amdhsa_exception_fp_ieee_inexact 0
		.amdhsa_exception_int_div_zero 0
	.end_amdhsa_kernel
	.section	.text._ZN9rocsparseL22gebsrmvn_mxn_16_kernelILj56ELj14ELj4E21rocsparse_complex_numIdEEEvi20rocsparse_direction_NS_24const_host_device_scalarIT2_EEPKiS8_PKS5_iiSA_S6_PS5_21rocsparse_index_base_b,"axG",@progbits,_ZN9rocsparseL22gebsrmvn_mxn_16_kernelILj56ELj14ELj4E21rocsparse_complex_numIdEEEvi20rocsparse_direction_NS_24const_host_device_scalarIT2_EEPKiS8_PKS5_iiSA_S6_PS5_21rocsparse_index_base_b,comdat
.Lfunc_end115:
	.size	_ZN9rocsparseL22gebsrmvn_mxn_16_kernelILj56ELj14ELj4E21rocsparse_complex_numIdEEEvi20rocsparse_direction_NS_24const_host_device_scalarIT2_EEPKiS8_PKS5_iiSA_S6_PS5_21rocsparse_index_base_b, .Lfunc_end115-_ZN9rocsparseL22gebsrmvn_mxn_16_kernelILj56ELj14ELj4E21rocsparse_complex_numIdEEEvi20rocsparse_direction_NS_24const_host_device_scalarIT2_EEPKiS8_PKS5_iiSA_S6_PS5_21rocsparse_index_base_b
                                        ; -- End function
	.section	.AMDGPU.csdata,"",@progbits
; Kernel info:
; codeLenInByte = 1496
; NumSgprs: 20
; NumVgprs: 28
; ScratchSize: 0
; MemoryBound: 0
; FloatMode: 240
; IeeeMode: 1
; LDSByteSize: 1792 bytes/workgroup (compile time only)
; SGPRBlocks: 2
; VGPRBlocks: 3
; NumSGPRsForWavesPerEU: 20
; NumVGPRsForWavesPerEU: 28
; Occupancy: 16
; WaveLimiterHint : 1
; COMPUTE_PGM_RSRC2:SCRATCH_EN: 0
; COMPUTE_PGM_RSRC2:USER_SGPR: 15
; COMPUTE_PGM_RSRC2:TRAP_HANDLER: 0
; COMPUTE_PGM_RSRC2:TGID_X_EN: 1
; COMPUTE_PGM_RSRC2:TGID_Y_EN: 0
; COMPUTE_PGM_RSRC2:TGID_Z_EN: 0
; COMPUTE_PGM_RSRC2:TIDIG_COMP_CNT: 2
	.section	.text._ZN9rocsparseL22gebsrmvn_mxn_16_kernelILj70ELj14ELj5E21rocsparse_complex_numIdEEEvi20rocsparse_direction_NS_24const_host_device_scalarIT2_EEPKiS8_PKS5_iiSA_S6_PS5_21rocsparse_index_base_b,"axG",@progbits,_ZN9rocsparseL22gebsrmvn_mxn_16_kernelILj70ELj14ELj5E21rocsparse_complex_numIdEEEvi20rocsparse_direction_NS_24const_host_device_scalarIT2_EEPKiS8_PKS5_iiSA_S6_PS5_21rocsparse_index_base_b,comdat
	.globl	_ZN9rocsparseL22gebsrmvn_mxn_16_kernelILj70ELj14ELj5E21rocsparse_complex_numIdEEEvi20rocsparse_direction_NS_24const_host_device_scalarIT2_EEPKiS8_PKS5_iiSA_S6_PS5_21rocsparse_index_base_b ; -- Begin function _ZN9rocsparseL22gebsrmvn_mxn_16_kernelILj70ELj14ELj5E21rocsparse_complex_numIdEEEvi20rocsparse_direction_NS_24const_host_device_scalarIT2_EEPKiS8_PKS5_iiSA_S6_PS5_21rocsparse_index_base_b
	.p2align	8
	.type	_ZN9rocsparseL22gebsrmvn_mxn_16_kernelILj70ELj14ELj5E21rocsparse_complex_numIdEEEvi20rocsparse_direction_NS_24const_host_device_scalarIT2_EEPKiS8_PKS5_iiSA_S6_PS5_21rocsparse_index_base_b,@function
_ZN9rocsparseL22gebsrmvn_mxn_16_kernelILj70ELj14ELj5E21rocsparse_complex_numIdEEEvi20rocsparse_direction_NS_24const_host_device_scalarIT2_EEPKiS8_PKS5_iiSA_S6_PS5_21rocsparse_index_base_b: ; @_ZN9rocsparseL22gebsrmvn_mxn_16_kernelILj70ELj14ELj5E21rocsparse_complex_numIdEEEvi20rocsparse_direction_NS_24const_host_device_scalarIT2_EEPKiS8_PKS5_iiSA_S6_PS5_21rocsparse_index_base_b
; %bb.0:
	s_mov_b32 s12, s15
	s_load_b64 s[14:15], s[2:3], 0x58
	s_load_b64 s[16:17], s[0:1], 0x4
	s_load_b128 s[8:11], s[2:3], 0x8
	v_bfe_u32 v1, v0, 10, 10
	s_mov_b64 s[0:1], src_shared_base
	s_load_b128 s[4:7], s[2:3], 0x40
	v_and_b32_e32 v8, 0x3ff, v0
	v_bfe_u32 v0, v0, 20, 10
	s_waitcnt lgkmcnt(0)
	s_bitcmp1_b32 s15, 0
	v_mul_u32_u24_e32 v1, s17, v1
	s_cselect_b32 s0, -1, 0
	v_mov_b32_e32 v16, s11
	s_and_b32 vcc_lo, s0, exec_lo
	s_cselect_b32 s13, s1, s9
	s_lshr_b32 s15, s16, 16
	v_dual_mov_b32 v2, s4 :: v_dual_mov_b32 v15, s10
	s_mul_i32 s15, s15, s17
	s_xor_b32 s10, s0, -1
	v_mad_u32_u24 v1, s15, v8, v1
	v_mov_b32_e32 v5, s13
	v_mov_b32_e32 v3, s5
	s_delay_alu instid0(VALU_DEP_3) | instskip(SKIP_1) | instid1(VALU_DEP_2)
	v_add_lshl_u32 v6, v1, v0, 3
	v_dual_mov_b32 v0, s8 :: v_dual_mov_b32 v1, s9
	v_add_nc_u32_e32 v4, 0x690, v6
	ds_store_2addr_b64 v6, v[2:3], v[0:1] offset0:140 offset1:210
	v_add_nc_u32_e32 v0, 0x460, v6
	v_cndmask_b32_e64 v4, s8, v4, s0
	flat_load_b64 v[13:14], v[4:5]
	s_cbranch_vccnz .LBB116_2
; %bb.1:
	v_dual_mov_b32 v1, s8 :: v_dual_mov_b32 v2, s9
	flat_load_b64 v[15:16], v[1:2] offset:8
.LBB116_2:
	s_and_b32 s8, s0, exec_lo
	s_cselect_b32 s1, s1, s5
	v_cndmask_b32_e64 v0, s4, v0, s0
	v_dual_mov_b32 v1, s1 :: v_dual_mov_b32 v12, s7
	v_mov_b32_e32 v11, s6
	s_and_not1_b32 vcc_lo, exec_lo, s10
	flat_load_b64 v[9:10], v[0:1]
	s_cbranch_vccnz .LBB116_4
; %bb.3:
	v_dual_mov_b32 v0, s4 :: v_dual_mov_b32 v1, s5
	flat_load_b64 v[11:12], v[0:1] offset:8
.LBB116_4:
	s_waitcnt vmcnt(1) lgkmcnt(1)
	v_cmp_eq_f64_e32 vcc_lo, 0, v[13:14]
	v_cmp_eq_f64_e64 s0, 0, v[15:16]
	s_delay_alu instid0(VALU_DEP_1)
	s_and_b32 s4, vcc_lo, s0
	s_mov_b32 s0, -1
	s_and_saveexec_b32 s1, s4
	s_cbranch_execz .LBB116_6
; %bb.5:
	s_waitcnt vmcnt(0) lgkmcnt(0)
	v_cmp_neq_f64_e32 vcc_lo, 1.0, v[9:10]
	v_cmp_neq_f64_e64 s0, 0, v[11:12]
	s_delay_alu instid0(VALU_DEP_1) | instskip(NEXT) | instid1(SALU_CYCLE_1)
	s_or_b32 s0, vcc_lo, s0
	s_or_not1_b32 s0, s0, exec_lo
.LBB116_6:
	s_or_b32 exec_lo, exec_lo, s1
	s_and_saveexec_b32 s1, s0
	s_cbranch_execz .LBB116_39
; %bb.7:
	v_mul_u32_u24_e32 v0, 0x3334, v8
	s_clause 0x1
	s_load_b32 s4, s[2:3], 0x4
	s_load_b64 s[0:1], s[2:3], 0x18
	s_delay_alu instid0(VALU_DEP_1) | instskip(NEXT) | instid1(VALU_DEP_1)
	v_lshrrev_b32_e32 v0, 16, v0
	v_mul_lo_u16 v0, v0, 5
	s_delay_alu instid0(VALU_DEP_1) | instskip(NEXT) | instid1(VALU_DEP_1)
	v_sub_nc_u16 v0, v8, v0
	v_and_b32_e32 v7, 0xffff, v0
	s_waitcnt lgkmcnt(0)
	s_cmp_lg_u32 s4, 1
	v_and_b32_e32 v5, 0xffff, v8
	s_cselect_b32 s15, -1, 0
	v_mov_b32_e32 v4, v7
	s_and_b32 vcc_lo, exec_lo, s15
	s_cbranch_vccnz .LBB116_9
; %bb.8:
	v_mul_u32_u24_e32 v0, 0x124a, v5
	s_delay_alu instid0(VALU_DEP_1) | instskip(NEXT) | instid1(VALU_DEP_1)
	v_lshrrev_b32_e32 v0, 16, v0
	v_mul_lo_u16 v1, v0, 52
	s_delay_alu instid0(VALU_DEP_1) | instskip(NEXT) | instid1(VALU_DEP_1)
	v_lshrrev_b16 v1, 8, v1
	v_mul_lo_u16 v1, v1, 5
	s_delay_alu instid0(VALU_DEP_1) | instskip(NEXT) | instid1(VALU_DEP_1)
	v_sub_nc_u16 v0, v0, v1
	v_and_b32_e32 v4, 0xff, v0
.LBB116_9:
	s_ashr_i32 s13, s12, 31
	v_mov_b32_e32 v2, 0
	s_lshl_b64 s[4:5], s[12:13], 2
	v_mov_b32_e32 v3, 0
	s_add_u32 s0, s0, s4
	s_addc_u32 s1, s1, s5
	v_mov_b32_e32 v0, v2
	s_load_b64 s[10:11], s[0:1], 0x0
	s_load_b64 s[8:9], s[2:3], 0x50
	v_mov_b32_e32 v1, v3
	s_waitcnt lgkmcnt(0)
	s_cmp_ge_i32 s10, s11
	s_cbranch_scc1 .LBB116_14
; %bb.10:
	s_clause 0x1
	s_load_b128 s[4:7], s[2:3], 0x20
	s_load_b64 s[0:1], s[2:3], 0x38
	s_waitcnt vmcnt(0)
	v_mad_u64_u32 v[0:1], null, 0x46, s10, v[8:9]
	v_mov_b32_e32 v2, 0
	v_mul_u32_u24_e32 v1, 0x3a9, v5
	v_dual_mov_b32 v3, 0 :: v_dual_mov_b32 v6, 0
	s_mul_i32 s2, s14, 0x46
	s_sub_i32 s3, s10, s14
	s_delay_alu instid0(VALU_DEP_2)
	v_lshrrev_b32_e32 v19, 16, v1
	v_subrev_nc_u32_e32 v5, s2, v0
	v_dual_mov_b32 v0, v2 :: v_dual_mov_b32 v1, v3
	s_sub_i32 s2, s11, s14
	s_set_inst_prefetch_distance 0x1
	s_branch .LBB116_12
	.p2align	6
.LBB116_11:                             ;   in Loop: Header=BB116_12 Depth=1
	s_or_b32 exec_lo, exec_lo, s10
	v_add_nc_u32_e32 v5, 0x46, v5
	s_add_i32 s3, s3, 1
	s_delay_alu instid0(SALU_CYCLE_1)
	s_cmp_ge_i32 s3, s2
	s_cbranch_scc1 .LBB116_14
.LBB116_12:                             ; =>This Inner Loop Header: Depth=1
	v_add_nc_u32_e32 v17, s3, v19
	s_mov_b32 s10, exec_lo
	s_delay_alu instid0(VALU_DEP_1)
	v_cmpx_gt_i32_e64 s2, v17
	s_cbranch_execz .LBB116_11
; %bb.13:                               ;   in Loop: Header=BB116_12 Depth=1
	v_ashrrev_i32_e32 v18, 31, v17
	s_delay_alu instid0(VALU_DEP_1) | instskip(SKIP_1) | instid1(VALU_DEP_1)
	v_lshlrev_b64 v[17:18], 2, v[17:18]
	s_waitcnt lgkmcnt(0)
	v_add_co_u32 v17, vcc_lo, s4, v17
	s_delay_alu instid0(VALU_DEP_2) | instskip(SKIP_3) | instid1(VALU_DEP_1)
	v_add_co_ci_u32_e32 v18, vcc_lo, s5, v18, vcc_lo
	global_load_b32 v17, v[17:18], off
	s_waitcnt vmcnt(0)
	v_subrev_nc_u32_e32 v20, s14, v17
	v_mad_u64_u32 v[17:18], null, v20, 5, v[4:5]
	v_lshlrev_b64 v[20:21], 4, v[5:6]
	s_delay_alu instid0(VALU_DEP_1) | instskip(NEXT) | instid1(VALU_DEP_3)
	v_add_co_u32 v20, vcc_lo, s6, v20
	v_ashrrev_i32_e32 v18, 31, v17
	s_delay_alu instid0(VALU_DEP_3) | instskip(NEXT) | instid1(VALU_DEP_2)
	v_add_co_ci_u32_e32 v21, vcc_lo, s7, v21, vcc_lo
	v_lshlrev_b64 v[17:18], 4, v[17:18]
	s_delay_alu instid0(VALU_DEP_1) | instskip(NEXT) | instid1(VALU_DEP_2)
	v_add_co_u32 v17, vcc_lo, s0, v17
	v_add_co_ci_u32_e32 v18, vcc_lo, s1, v18, vcc_lo
	global_load_b128 v[20:23], v[20:21], off
	global_load_b128 v[24:27], v[17:18], off
	s_waitcnt vmcnt(0)
	v_fma_f64 v[0:1], v[20:21], v[24:25], v[0:1]
	v_fma_f64 v[2:3], v[22:23], v[24:25], v[2:3]
	s_delay_alu instid0(VALU_DEP_2) | instskip(NEXT) | instid1(VALU_DEP_2)
	v_fma_f64 v[0:1], -v[22:23], v[26:27], v[0:1]
	v_fma_f64 v[2:3], v[20:21], v[26:27], v[2:3]
	s_branch .LBB116_11
.LBB116_14:
	s_set_inst_prefetch_distance 0x2
	v_lshlrev_b32_e32 v17, 4, v8
	s_and_b32 vcc_lo, exec_lo, s15
	ds_store_b128 v17, v[0:3]
	s_waitcnt vmcnt(0) lgkmcnt(0)
	s_barrier
	buffer_gl0_inv
	s_cbranch_vccz .LBB116_24
; %bb.15:
	v_cmp_eq_u16_e32 vcc_lo, 0, v7
	s_and_saveexec_b32 s0, vcc_lo
	s_cbranch_execz .LBB116_17
; %bb.16:
	ds_load_b128 v[18:21], v17 offset:64
	ds_load_b128 v[22:25], v17
	s_waitcnt lgkmcnt(0)
	v_add_f64 v[18:19], v[18:19], v[22:23]
	v_add_f64 v[20:21], v[20:21], v[24:25]
	ds_store_b128 v17, v[18:21]
.LBB116_17:
	s_or_b32 exec_lo, exec_lo, s0
	s_delay_alu instid0(SALU_CYCLE_1)
	s_mov_b32 s1, exec_lo
	s_waitcnt lgkmcnt(0)
	s_barrier
	buffer_gl0_inv
	v_cmpx_gt_u16_e32 2, v7
	s_cbranch_execz .LBB116_19
; %bb.18:
	ds_load_b128 v[4:7], v17
	ds_load_b128 v[18:21], v17 offset:32
	s_waitcnt lgkmcnt(0)
	v_add_f64 v[4:5], v[18:19], v[4:5]
	v_add_f64 v[6:7], v[20:21], v[6:7]
	ds_store_b128 v17, v[4:7]
.LBB116_19:
	s_or_b32 exec_lo, exec_lo, s1
	s_waitcnt lgkmcnt(0)
	s_barrier
	buffer_gl0_inv
	s_and_saveexec_b32 s0, vcc_lo
	s_cbranch_execz .LBB116_21
; %bb.20:
	ds_load_b128 v[4:7], v17
	ds_load_b128 v[18:21], v17 offset:16
	s_waitcnt lgkmcnt(0)
	v_add_f64 v[4:5], v[18:19], v[4:5]
	v_add_f64 v[6:7], v[20:21], v[6:7]
	ds_store_b128 v17, v[4:7]
.LBB116_21:
	s_or_b32 exec_lo, exec_lo, s0
	v_dual_mov_b32 v7, v3 :: v_dual_mov_b32 v6, v2
	v_dual_mov_b32 v5, v1 :: v_dual_mov_b32 v4, v0
	s_mov_b32 s0, exec_lo
	s_waitcnt lgkmcnt(0)
	s_barrier
	buffer_gl0_inv
	v_cmpx_gt_u32_e32 14, v8
	s_cbranch_execz .LBB116_23
; %bb.22:
	v_lshl_add_u32 v4, v8, 6, v17
	ds_load_b128 v[4:7], v4
.LBB116_23:
	s_or_b32 exec_lo, exec_lo, s0
	v_cmp_gt_u32_e64 s0, 14, v8
	s_branch .LBB116_34
.LBB116_24:
                                        ; implicit-def: $vgpr6_vgpr7
	v_cmp_gt_u32_e64 s0, 14, v8
	s_cbranch_execz .LBB116_34
; %bb.25:
	v_cmp_lt_u32_e32 vcc_lo, 13, v8
	s_delay_alu instid0(VALU_DEP_2)
	s_and_saveexec_b32 s1, s0
	s_cbranch_execz .LBB116_27
; %bb.26:
	s_waitcnt lgkmcnt(0)
	ds_load_b128 v[4:7], v17 offset:896
	ds_load_b128 v[18:21], v17
	s_waitcnt lgkmcnt(0)
	v_add_f64 v[4:5], v[4:5], v[18:19]
	v_add_f64 v[6:7], v[6:7], v[20:21]
	ds_store_b128 v17, v[4:7]
.LBB116_27:
	s_or_b32 exec_lo, exec_lo, s1
	s_delay_alu instid0(SALU_CYCLE_1)
	s_mov_b32 s1, exec_lo
	s_waitcnt lgkmcnt(0)
	s_barrier
	buffer_gl0_inv
	v_cmpx_gt_u32_e32 28, v8
	s_cbranch_execz .LBB116_29
; %bb.28:
	ds_load_b128 v[4:7], v17 offset:448
	ds_load_b128 v[18:21], v17
	s_waitcnt lgkmcnt(0)
	v_add_f64 v[4:5], v[4:5], v[18:19]
	v_add_f64 v[6:7], v[6:7], v[20:21]
	ds_store_b128 v17, v[4:7]
.LBB116_29:
	s_or_b32 exec_lo, exec_lo, s1
	s_waitcnt lgkmcnt(0)
	buffer_gl0_inv
	s_and_saveexec_b32 s0, vcc_lo
	s_delay_alu instid0(SALU_CYCLE_1)
	s_xor_b32 s0, exec_lo, s0
	s_cbranch_execz .LBB116_31
; %bb.30:
	buffer_gl0_inv
                                        ; implicit-def: $vgpr17
.LBB116_31:
	s_and_not1_saveexec_b32 s0, s0
	s_cbranch_execz .LBB116_33
; %bb.32:
	ds_load_b128 v[0:3], v17 offset:224
	ds_load_b128 v[4:7], v17
	s_waitcnt lgkmcnt(0)
	v_add_f64 v[0:1], v[0:1], v[4:5]
	v_add_f64 v[2:3], v[2:3], v[6:7]
	ds_store_b128 v17, v[0:3]
	s_waitcnt lgkmcnt(0)
	buffer_gl0_inv
	ds_load_b128 v[0:3], v17
.LBB116_33:
	s_or_b32 exec_lo, exec_lo, s0
	s_waitcnt lgkmcnt(0)
	v_dual_mov_b32 v7, v3 :: v_dual_mov_b32 v6, v2
	v_dual_mov_b32 v5, v1 :: v_dual_mov_b32 v4, v0
.LBB116_34:
	v_cmp_gt_u32_e32 vcc_lo, 14, v8
	s_and_b32 exec_lo, exec_lo, vcc_lo
	s_cbranch_execz .LBB116_39
; %bb.35:
	s_waitcnt lgkmcnt(0)
	v_mul_f64 v[0:1], v[6:7], -v[15:16]
	v_mul_f64 v[2:3], v[13:14], v[6:7]
	v_cmp_eq_f64_e32 vcc_lo, 0, v[9:10]
	v_cmp_eq_f64_e64 s0, 0, v[11:12]
	s_delay_alu instid0(VALU_DEP_4) | instskip(NEXT) | instid1(VALU_DEP_4)
	v_fma_f64 v[0:1], v[13:14], v[4:5], v[0:1]
	v_fma_f64 v[2:3], v[15:16], v[4:5], v[2:3]
	s_delay_alu instid0(VALU_DEP_3) | instskip(NEXT) | instid1(SALU_CYCLE_1)
	s_and_b32 s0, vcc_lo, s0
	s_and_saveexec_b32 s1, s0
	s_delay_alu instid0(SALU_CYCLE_1)
	s_xor_b32 s0, exec_lo, s1
	s_cbranch_execz .LBB116_37
; %bb.36:
	v_mad_u64_u32 v[4:5], null, s12, 14, v[8:9]
	v_mov_b32_e32 v5, 0
                                        ; implicit-def: $vgpr8
                                        ; implicit-def: $vgpr9_vgpr10
                                        ; implicit-def: $vgpr11_vgpr12
	s_delay_alu instid0(VALU_DEP_1) | instskip(NEXT) | instid1(VALU_DEP_1)
	v_lshlrev_b64 v[4:5], 4, v[4:5]
	v_add_co_u32 v4, vcc_lo, s8, v4
	s_delay_alu instid0(VALU_DEP_2)
	v_add_co_ci_u32_e32 v5, vcc_lo, s9, v5, vcc_lo
	global_store_b128 v[4:5], v[0:3], off
                                        ; implicit-def: $vgpr0_vgpr1
.LBB116_37:
	s_and_not1_saveexec_b32 s0, s0
	s_cbranch_execz .LBB116_39
; %bb.38:
	v_mad_u64_u32 v[4:5], null, s12, 14, v[8:9]
	v_mov_b32_e32 v5, 0
	s_delay_alu instid0(VALU_DEP_1) | instskip(NEXT) | instid1(VALU_DEP_1)
	v_lshlrev_b64 v[4:5], 4, v[4:5]
	v_add_co_u32 v13, vcc_lo, s8, v4
	s_delay_alu instid0(VALU_DEP_2) | instskip(SKIP_4) | instid1(VALU_DEP_2)
	v_add_co_ci_u32_e32 v14, vcc_lo, s9, v5, vcc_lo
	global_load_b128 v[4:7], v[13:14], off
	s_waitcnt vmcnt(0)
	v_fma_f64 v[0:1], v[9:10], v[4:5], v[0:1]
	v_fma_f64 v[2:3], v[11:12], v[4:5], v[2:3]
	v_fma_f64 v[0:1], -v[11:12], v[6:7], v[0:1]
	s_delay_alu instid0(VALU_DEP_2)
	v_fma_f64 v[2:3], v[9:10], v[6:7], v[2:3]
	global_store_b128 v[13:14], v[0:3], off
.LBB116_39:
	s_nop 0
	s_sendmsg sendmsg(MSG_DEALLOC_VGPRS)
	s_endpgm
	.section	.rodata,"a",@progbits
	.p2align	6, 0x0
	.amdhsa_kernel _ZN9rocsparseL22gebsrmvn_mxn_16_kernelILj70ELj14ELj5E21rocsparse_complex_numIdEEEvi20rocsparse_direction_NS_24const_host_device_scalarIT2_EEPKiS8_PKS5_iiSA_S6_PS5_21rocsparse_index_base_b
		.amdhsa_group_segment_fixed_size 2240
		.amdhsa_private_segment_fixed_size 0
		.amdhsa_kernarg_size 96
		.amdhsa_user_sgpr_count 15
		.amdhsa_user_sgpr_dispatch_ptr 1
		.amdhsa_user_sgpr_queue_ptr 0
		.amdhsa_user_sgpr_kernarg_segment_ptr 1
		.amdhsa_user_sgpr_dispatch_id 0
		.amdhsa_user_sgpr_private_segment_size 0
		.amdhsa_wavefront_size32 1
		.amdhsa_uses_dynamic_stack 0
		.amdhsa_enable_private_segment 0
		.amdhsa_system_sgpr_workgroup_id_x 1
		.amdhsa_system_sgpr_workgroup_id_y 0
		.amdhsa_system_sgpr_workgroup_id_z 0
		.amdhsa_system_sgpr_workgroup_info 0
		.amdhsa_system_vgpr_workitem_id 2
		.amdhsa_next_free_vgpr 28
		.amdhsa_next_free_sgpr 18
		.amdhsa_reserve_vcc 1
		.amdhsa_float_round_mode_32 0
		.amdhsa_float_round_mode_16_64 0
		.amdhsa_float_denorm_mode_32 3
		.amdhsa_float_denorm_mode_16_64 3
		.amdhsa_dx10_clamp 1
		.amdhsa_ieee_mode 1
		.amdhsa_fp16_overflow 0
		.amdhsa_workgroup_processor_mode 1
		.amdhsa_memory_ordered 1
		.amdhsa_forward_progress 0
		.amdhsa_shared_vgpr_count 0
		.amdhsa_exception_fp_ieee_invalid_op 0
		.amdhsa_exception_fp_denorm_src 0
		.amdhsa_exception_fp_ieee_div_zero 0
		.amdhsa_exception_fp_ieee_overflow 0
		.amdhsa_exception_fp_ieee_underflow 0
		.amdhsa_exception_fp_ieee_inexact 0
		.amdhsa_exception_int_div_zero 0
	.end_amdhsa_kernel
	.section	.text._ZN9rocsparseL22gebsrmvn_mxn_16_kernelILj70ELj14ELj5E21rocsparse_complex_numIdEEEvi20rocsparse_direction_NS_24const_host_device_scalarIT2_EEPKiS8_PKS5_iiSA_S6_PS5_21rocsparse_index_base_b,"axG",@progbits,_ZN9rocsparseL22gebsrmvn_mxn_16_kernelILj70ELj14ELj5E21rocsparse_complex_numIdEEEvi20rocsparse_direction_NS_24const_host_device_scalarIT2_EEPKiS8_PKS5_iiSA_S6_PS5_21rocsparse_index_base_b,comdat
.Lfunc_end116:
	.size	_ZN9rocsparseL22gebsrmvn_mxn_16_kernelILj70ELj14ELj5E21rocsparse_complex_numIdEEEvi20rocsparse_direction_NS_24const_host_device_scalarIT2_EEPKiS8_PKS5_iiSA_S6_PS5_21rocsparse_index_base_b, .Lfunc_end116-_ZN9rocsparseL22gebsrmvn_mxn_16_kernelILj70ELj14ELj5E21rocsparse_complex_numIdEEEvi20rocsparse_direction_NS_24const_host_device_scalarIT2_EEPKiS8_PKS5_iiSA_S6_PS5_21rocsparse_index_base_b
                                        ; -- End function
	.section	.AMDGPU.csdata,"",@progbits
; Kernel info:
; codeLenInByte = 1764
; NumSgprs: 20
; NumVgprs: 28
; ScratchSize: 0
; MemoryBound: 0
; FloatMode: 240
; IeeeMode: 1
; LDSByteSize: 2240 bytes/workgroup (compile time only)
; SGPRBlocks: 2
; VGPRBlocks: 3
; NumSGPRsForWavesPerEU: 20
; NumVGPRsForWavesPerEU: 28
; Occupancy: 16
; WaveLimiterHint : 1
; COMPUTE_PGM_RSRC2:SCRATCH_EN: 0
; COMPUTE_PGM_RSRC2:USER_SGPR: 15
; COMPUTE_PGM_RSRC2:TRAP_HANDLER: 0
; COMPUTE_PGM_RSRC2:TGID_X_EN: 1
; COMPUTE_PGM_RSRC2:TGID_Y_EN: 0
; COMPUTE_PGM_RSRC2:TGID_Z_EN: 0
; COMPUTE_PGM_RSRC2:TIDIG_COMP_CNT: 2
	.section	.text._ZN9rocsparseL22gebsrmvn_mxn_16_kernelILj84ELj14ELj6E21rocsparse_complex_numIdEEEvi20rocsparse_direction_NS_24const_host_device_scalarIT2_EEPKiS8_PKS5_iiSA_S6_PS5_21rocsparse_index_base_b,"axG",@progbits,_ZN9rocsparseL22gebsrmvn_mxn_16_kernelILj84ELj14ELj6E21rocsparse_complex_numIdEEEvi20rocsparse_direction_NS_24const_host_device_scalarIT2_EEPKiS8_PKS5_iiSA_S6_PS5_21rocsparse_index_base_b,comdat
	.globl	_ZN9rocsparseL22gebsrmvn_mxn_16_kernelILj84ELj14ELj6E21rocsparse_complex_numIdEEEvi20rocsparse_direction_NS_24const_host_device_scalarIT2_EEPKiS8_PKS5_iiSA_S6_PS5_21rocsparse_index_base_b ; -- Begin function _ZN9rocsparseL22gebsrmvn_mxn_16_kernelILj84ELj14ELj6E21rocsparse_complex_numIdEEEvi20rocsparse_direction_NS_24const_host_device_scalarIT2_EEPKiS8_PKS5_iiSA_S6_PS5_21rocsparse_index_base_b
	.p2align	8
	.type	_ZN9rocsparseL22gebsrmvn_mxn_16_kernelILj84ELj14ELj6E21rocsparse_complex_numIdEEEvi20rocsparse_direction_NS_24const_host_device_scalarIT2_EEPKiS8_PKS5_iiSA_S6_PS5_21rocsparse_index_base_b,@function
_ZN9rocsparseL22gebsrmvn_mxn_16_kernelILj84ELj14ELj6E21rocsparse_complex_numIdEEEvi20rocsparse_direction_NS_24const_host_device_scalarIT2_EEPKiS8_PKS5_iiSA_S6_PS5_21rocsparse_index_base_b: ; @_ZN9rocsparseL22gebsrmvn_mxn_16_kernelILj84ELj14ELj6E21rocsparse_complex_numIdEEEvi20rocsparse_direction_NS_24const_host_device_scalarIT2_EEPKiS8_PKS5_iiSA_S6_PS5_21rocsparse_index_base_b
; %bb.0:
	s_mov_b32 s12, s15
	s_load_b64 s[14:15], s[2:3], 0x58
	s_load_b64 s[16:17], s[0:1], 0x4
	s_load_b128 s[8:11], s[2:3], 0x8
	v_bfe_u32 v1, v0, 10, 10
	s_mov_b64 s[0:1], src_shared_base
	s_load_b128 s[4:7], s[2:3], 0x40
	v_and_b32_e32 v8, 0x3ff, v0
	v_bfe_u32 v0, v0, 20, 10
	s_waitcnt lgkmcnt(0)
	s_bitcmp1_b32 s15, 0
	v_mul_u32_u24_e32 v1, s17, v1
	s_cselect_b32 s0, -1, 0
	v_mov_b32_e32 v16, s11
	s_and_b32 vcc_lo, s0, exec_lo
	s_cselect_b32 s13, s1, s9
	s_lshr_b32 s15, s16, 16
	v_dual_mov_b32 v2, s4 :: v_dual_mov_b32 v15, s10
	s_mul_i32 s15, s15, s17
	s_xor_b32 s10, s0, -1
	v_mad_u32_u24 v1, s15, v8, v1
	v_mov_b32_e32 v5, s13
	v_mov_b32_e32 v3, s5
	s_delay_alu instid0(VALU_DEP_3) | instskip(SKIP_1) | instid1(VALU_DEP_2)
	v_add_lshl_u32 v6, v1, v0, 3
	v_dual_mov_b32 v0, s8 :: v_dual_mov_b32 v1, s9
	v_add_nc_u32_e32 v4, 0x7e0, v6
	ds_store_2addr_b64 v6, v[2:3], v[0:1] offset0:168 offset1:252
	v_add_nc_u32_e32 v0, 0x540, v6
	v_cndmask_b32_e64 v4, s8, v4, s0
	flat_load_b64 v[13:14], v[4:5]
	s_cbranch_vccnz .LBB117_2
; %bb.1:
	v_dual_mov_b32 v1, s8 :: v_dual_mov_b32 v2, s9
	flat_load_b64 v[15:16], v[1:2] offset:8
.LBB117_2:
	s_and_b32 s8, s0, exec_lo
	s_cselect_b32 s1, s1, s5
	v_cndmask_b32_e64 v0, s4, v0, s0
	v_dual_mov_b32 v1, s1 :: v_dual_mov_b32 v12, s7
	v_mov_b32_e32 v11, s6
	s_and_not1_b32 vcc_lo, exec_lo, s10
	flat_load_b64 v[9:10], v[0:1]
	s_cbranch_vccnz .LBB117_4
; %bb.3:
	v_dual_mov_b32 v0, s4 :: v_dual_mov_b32 v1, s5
	flat_load_b64 v[11:12], v[0:1] offset:8
.LBB117_4:
	s_waitcnt vmcnt(1) lgkmcnt(1)
	v_cmp_eq_f64_e32 vcc_lo, 0, v[13:14]
	v_cmp_eq_f64_e64 s0, 0, v[15:16]
	s_delay_alu instid0(VALU_DEP_1)
	s_and_b32 s4, vcc_lo, s0
	s_mov_b32 s0, -1
	s_and_saveexec_b32 s1, s4
	s_cbranch_execz .LBB117_6
; %bb.5:
	s_waitcnt vmcnt(0) lgkmcnt(0)
	v_cmp_neq_f64_e32 vcc_lo, 1.0, v[9:10]
	v_cmp_neq_f64_e64 s0, 0, v[11:12]
	s_delay_alu instid0(VALU_DEP_1) | instskip(NEXT) | instid1(SALU_CYCLE_1)
	s_or_b32 s0, vcc_lo, s0
	s_or_not1_b32 s0, s0, exec_lo
.LBB117_6:
	s_or_b32 exec_lo, exec_lo, s1
	s_and_saveexec_b32 s1, s0
	s_cbranch_execz .LBB117_39
; %bb.7:
	v_mul_u32_u24_e32 v0, 0x2aab, v8
	s_clause 0x1
	s_load_b32 s4, s[2:3], 0x4
	s_load_b64 s[0:1], s[2:3], 0x18
	s_delay_alu instid0(VALU_DEP_1) | instskip(NEXT) | instid1(VALU_DEP_1)
	v_lshrrev_b32_e32 v0, 16, v0
	v_mul_lo_u16 v0, v0, 6
	s_delay_alu instid0(VALU_DEP_1) | instskip(NEXT) | instid1(VALU_DEP_1)
	v_sub_nc_u16 v0, v8, v0
	v_and_b32_e32 v7, 0xffff, v0
	s_waitcnt lgkmcnt(0)
	s_cmp_lg_u32 s4, 1
	v_and_b32_e32 v5, 0xffff, v8
	s_cselect_b32 s15, -1, 0
	v_mov_b32_e32 v4, v7
	s_and_b32 vcc_lo, exec_lo, s15
	s_cbranch_vccnz .LBB117_9
; %bb.8:
	v_mul_u32_u24_e32 v0, 0x124a, v5
	s_delay_alu instid0(VALU_DEP_1) | instskip(NEXT) | instid1(VALU_DEP_1)
	v_lshrrev_b32_e32 v0, 16, v0
	v_mul_lo_u16 v1, v0, 43
	s_delay_alu instid0(VALU_DEP_1) | instskip(NEXT) | instid1(VALU_DEP_1)
	v_lshrrev_b16 v1, 8, v1
	v_mul_lo_u16 v1, v1, 6
	s_delay_alu instid0(VALU_DEP_1) | instskip(NEXT) | instid1(VALU_DEP_1)
	v_sub_nc_u16 v0, v0, v1
	v_and_b32_e32 v4, 0xff, v0
.LBB117_9:
	s_ashr_i32 s13, s12, 31
	v_mov_b32_e32 v2, 0
	s_lshl_b64 s[4:5], s[12:13], 2
	v_mov_b32_e32 v3, 0
	s_add_u32 s0, s0, s4
	s_addc_u32 s1, s1, s5
	v_mov_b32_e32 v0, v2
	s_load_b64 s[10:11], s[0:1], 0x0
	s_load_b64 s[8:9], s[2:3], 0x50
	v_mov_b32_e32 v1, v3
	s_waitcnt lgkmcnt(0)
	s_cmp_ge_i32 s10, s11
	s_cbranch_scc1 .LBB117_14
; %bb.10:
	s_clause 0x1
	s_load_b128 s[4:7], s[2:3], 0x20
	s_load_b64 s[0:1], s[2:3], 0x38
	s_waitcnt vmcnt(0)
	v_mad_u64_u32 v[0:1], null, 0x54, s10, v[8:9]
	v_mov_b32_e32 v2, 0
	v_mul_u32_u24_e32 v1, 0x30d, v5
	v_dual_mov_b32 v3, 0 :: v_dual_mov_b32 v6, 0
	s_mul_i32 s2, s14, 0x54
	s_sub_i32 s3, s10, s14
	s_delay_alu instid0(VALU_DEP_2)
	v_lshrrev_b32_e32 v19, 16, v1
	v_subrev_nc_u32_e32 v5, s2, v0
	v_dual_mov_b32 v0, v2 :: v_dual_mov_b32 v1, v3
	s_sub_i32 s2, s11, s14
	s_set_inst_prefetch_distance 0x1
	s_branch .LBB117_12
	.p2align	6
.LBB117_11:                             ;   in Loop: Header=BB117_12 Depth=1
	s_or_b32 exec_lo, exec_lo, s10
	v_add_nc_u32_e32 v5, 0x54, v5
	s_add_i32 s3, s3, 1
	s_delay_alu instid0(SALU_CYCLE_1)
	s_cmp_ge_i32 s3, s2
	s_cbranch_scc1 .LBB117_14
.LBB117_12:                             ; =>This Inner Loop Header: Depth=1
	v_add_nc_u32_e32 v17, s3, v19
	s_mov_b32 s10, exec_lo
	s_delay_alu instid0(VALU_DEP_1)
	v_cmpx_gt_i32_e64 s2, v17
	s_cbranch_execz .LBB117_11
; %bb.13:                               ;   in Loop: Header=BB117_12 Depth=1
	v_ashrrev_i32_e32 v18, 31, v17
	s_delay_alu instid0(VALU_DEP_1) | instskip(SKIP_1) | instid1(VALU_DEP_1)
	v_lshlrev_b64 v[17:18], 2, v[17:18]
	s_waitcnt lgkmcnt(0)
	v_add_co_u32 v17, vcc_lo, s4, v17
	s_delay_alu instid0(VALU_DEP_2) | instskip(SKIP_3) | instid1(VALU_DEP_1)
	v_add_co_ci_u32_e32 v18, vcc_lo, s5, v18, vcc_lo
	global_load_b32 v17, v[17:18], off
	s_waitcnt vmcnt(0)
	v_subrev_nc_u32_e32 v20, s14, v17
	v_mad_u64_u32 v[17:18], null, v20, 6, v[4:5]
	v_lshlrev_b64 v[20:21], 4, v[5:6]
	s_delay_alu instid0(VALU_DEP_1) | instskip(NEXT) | instid1(VALU_DEP_3)
	v_add_co_u32 v20, vcc_lo, s6, v20
	v_ashrrev_i32_e32 v18, 31, v17
	s_delay_alu instid0(VALU_DEP_3) | instskip(NEXT) | instid1(VALU_DEP_2)
	v_add_co_ci_u32_e32 v21, vcc_lo, s7, v21, vcc_lo
	v_lshlrev_b64 v[17:18], 4, v[17:18]
	s_delay_alu instid0(VALU_DEP_1) | instskip(NEXT) | instid1(VALU_DEP_2)
	v_add_co_u32 v17, vcc_lo, s0, v17
	v_add_co_ci_u32_e32 v18, vcc_lo, s1, v18, vcc_lo
	global_load_b128 v[20:23], v[20:21], off
	global_load_b128 v[24:27], v[17:18], off
	s_waitcnt vmcnt(0)
	v_fma_f64 v[0:1], v[20:21], v[24:25], v[0:1]
	v_fma_f64 v[2:3], v[22:23], v[24:25], v[2:3]
	s_delay_alu instid0(VALU_DEP_2) | instskip(NEXT) | instid1(VALU_DEP_2)
	v_fma_f64 v[0:1], -v[22:23], v[26:27], v[0:1]
	v_fma_f64 v[2:3], v[20:21], v[26:27], v[2:3]
	s_branch .LBB117_11
.LBB117_14:
	s_set_inst_prefetch_distance 0x2
	v_lshlrev_b32_e32 v17, 4, v8
	s_and_b32 vcc_lo, exec_lo, s15
	ds_store_b128 v17, v[0:3]
	s_waitcnt vmcnt(0) lgkmcnt(0)
	s_barrier
	buffer_gl0_inv
	s_cbranch_vccz .LBB117_24
; %bb.15:
	v_cmp_gt_u16_e32 vcc_lo, 2, v7
	s_and_saveexec_b32 s0, vcc_lo
	s_cbranch_execz .LBB117_17
; %bb.16:
	ds_load_b128 v[18:21], v17 offset:64
	ds_load_b128 v[22:25], v17
	s_waitcnt lgkmcnt(0)
	v_add_f64 v[18:19], v[18:19], v[22:23]
	v_add_f64 v[20:21], v[20:21], v[24:25]
	ds_store_b128 v17, v[18:21]
.LBB117_17:
	s_or_b32 exec_lo, exec_lo, s0
	s_waitcnt lgkmcnt(0)
	s_barrier
	buffer_gl0_inv
	s_and_saveexec_b32 s0, vcc_lo
	s_cbranch_execz .LBB117_19
; %bb.18:
	ds_load_b128 v[18:21], v17
	ds_load_b128 v[22:25], v17 offset:32
	s_waitcnt lgkmcnt(0)
	v_add_f64 v[18:19], v[22:23], v[18:19]
	v_add_f64 v[20:21], v[24:25], v[20:21]
	ds_store_b128 v17, v[18:21]
.LBB117_19:
	s_or_b32 exec_lo, exec_lo, s0
	s_delay_alu instid0(SALU_CYCLE_1)
	s_mov_b32 s0, exec_lo
	s_waitcnt lgkmcnt(0)
	s_barrier
	buffer_gl0_inv
	v_cmpx_eq_u16_e32 0, v7
	s_cbranch_execz .LBB117_21
; %bb.20:
	ds_load_b128 v[4:7], v17
	ds_load_b128 v[18:21], v17 offset:16
	s_waitcnt lgkmcnt(0)
	v_add_f64 v[4:5], v[18:19], v[4:5]
	v_add_f64 v[6:7], v[20:21], v[6:7]
	ds_store_b128 v17, v[4:7]
.LBB117_21:
	s_or_b32 exec_lo, exec_lo, s0
	v_dual_mov_b32 v7, v3 :: v_dual_mov_b32 v6, v2
	v_dual_mov_b32 v5, v1 :: v_dual_mov_b32 v4, v0
	s_mov_b32 s0, exec_lo
	s_waitcnt lgkmcnt(0)
	s_barrier
	buffer_gl0_inv
	v_cmpx_gt_u32_e32 14, v8
	s_cbranch_execz .LBB117_23
; %bb.22:
	v_mad_u32_u24 v4, 0x50, v8, v17
	ds_load_b128 v[4:7], v4
.LBB117_23:
	s_or_b32 exec_lo, exec_lo, s0
	s_branch .LBB117_34
.LBB117_24:
                                        ; implicit-def: $vgpr6_vgpr7
	s_cbranch_execz .LBB117_34
; %bb.25:
	v_cmp_gt_u32_e32 vcc_lo, 28, v8
	s_and_saveexec_b32 s0, vcc_lo
	s_cbranch_execz .LBB117_27
; %bb.26:
	s_waitcnt lgkmcnt(0)
	ds_load_b128 v[4:7], v17 offset:896
	ds_load_b128 v[18:21], v17
	s_waitcnt lgkmcnt(0)
	v_add_f64 v[4:5], v[4:5], v[18:19]
	v_add_f64 v[6:7], v[6:7], v[20:21]
	ds_store_b128 v17, v[4:7]
.LBB117_27:
	s_or_b32 exec_lo, exec_lo, s0
	s_waitcnt lgkmcnt(0)
	s_barrier
	buffer_gl0_inv
	s_and_saveexec_b32 s0, vcc_lo
	s_cbranch_execz .LBB117_29
; %bb.28:
	ds_load_b128 v[4:7], v17 offset:448
	ds_load_b128 v[18:21], v17
	s_waitcnt lgkmcnt(0)
	v_add_f64 v[4:5], v[4:5], v[18:19]
	v_add_f64 v[6:7], v[6:7], v[20:21]
	ds_store_b128 v17, v[4:7]
.LBB117_29:
	s_or_b32 exec_lo, exec_lo, s0
	s_delay_alu instid0(SALU_CYCLE_1)
	s_mov_b32 s0, exec_lo
	s_waitcnt lgkmcnt(0)
	buffer_gl0_inv
	v_cmpx_lt_u32_e32 13, v8
	s_xor_b32 s0, exec_lo, s0
	s_cbranch_execz .LBB117_31
; %bb.30:
	buffer_gl0_inv
                                        ; implicit-def: $vgpr17
.LBB117_31:
	s_and_not1_saveexec_b32 s0, s0
	s_cbranch_execz .LBB117_33
; %bb.32:
	ds_load_b128 v[0:3], v17 offset:224
	ds_load_b128 v[4:7], v17
	s_waitcnt lgkmcnt(0)
	v_add_f64 v[0:1], v[0:1], v[4:5]
	v_add_f64 v[2:3], v[2:3], v[6:7]
	ds_store_b128 v17, v[0:3]
	s_waitcnt lgkmcnt(0)
	buffer_gl0_inv
	ds_load_b128 v[0:3], v17
.LBB117_33:
	s_or_b32 exec_lo, exec_lo, s0
	s_waitcnt lgkmcnt(0)
	v_dual_mov_b32 v7, v3 :: v_dual_mov_b32 v6, v2
	v_dual_mov_b32 v5, v1 :: v_dual_mov_b32 v4, v0
.LBB117_34:
	v_cmp_gt_u32_e32 vcc_lo, 14, v8
	s_and_b32 exec_lo, exec_lo, vcc_lo
	s_cbranch_execz .LBB117_39
; %bb.35:
	s_waitcnt lgkmcnt(0)
	v_mul_f64 v[0:1], v[6:7], -v[15:16]
	v_mul_f64 v[2:3], v[13:14], v[6:7]
	v_cmp_eq_f64_e32 vcc_lo, 0, v[9:10]
	v_cmp_eq_f64_e64 s0, 0, v[11:12]
	s_delay_alu instid0(VALU_DEP_4) | instskip(NEXT) | instid1(VALU_DEP_4)
	v_fma_f64 v[0:1], v[13:14], v[4:5], v[0:1]
	v_fma_f64 v[2:3], v[15:16], v[4:5], v[2:3]
	s_delay_alu instid0(VALU_DEP_3) | instskip(NEXT) | instid1(SALU_CYCLE_1)
	s_and_b32 s0, vcc_lo, s0
	s_and_saveexec_b32 s1, s0
	s_delay_alu instid0(SALU_CYCLE_1)
	s_xor_b32 s0, exec_lo, s1
	s_cbranch_execz .LBB117_37
; %bb.36:
	v_mad_u64_u32 v[4:5], null, s12, 14, v[8:9]
	v_mov_b32_e32 v5, 0
                                        ; implicit-def: $vgpr8
                                        ; implicit-def: $vgpr9_vgpr10
                                        ; implicit-def: $vgpr11_vgpr12
	s_delay_alu instid0(VALU_DEP_1) | instskip(NEXT) | instid1(VALU_DEP_1)
	v_lshlrev_b64 v[4:5], 4, v[4:5]
	v_add_co_u32 v4, vcc_lo, s8, v4
	s_delay_alu instid0(VALU_DEP_2)
	v_add_co_ci_u32_e32 v5, vcc_lo, s9, v5, vcc_lo
	global_store_b128 v[4:5], v[0:3], off
                                        ; implicit-def: $vgpr0_vgpr1
.LBB117_37:
	s_and_not1_saveexec_b32 s0, s0
	s_cbranch_execz .LBB117_39
; %bb.38:
	v_mad_u64_u32 v[4:5], null, s12, 14, v[8:9]
	v_mov_b32_e32 v5, 0
	s_delay_alu instid0(VALU_DEP_1) | instskip(NEXT) | instid1(VALU_DEP_1)
	v_lshlrev_b64 v[4:5], 4, v[4:5]
	v_add_co_u32 v13, vcc_lo, s8, v4
	s_delay_alu instid0(VALU_DEP_2) | instskip(SKIP_4) | instid1(VALU_DEP_2)
	v_add_co_ci_u32_e32 v14, vcc_lo, s9, v5, vcc_lo
	global_load_b128 v[4:7], v[13:14], off
	s_waitcnt vmcnt(0)
	v_fma_f64 v[0:1], v[9:10], v[4:5], v[0:1]
	v_fma_f64 v[2:3], v[11:12], v[4:5], v[2:3]
	v_fma_f64 v[0:1], -v[11:12], v[6:7], v[0:1]
	s_delay_alu instid0(VALU_DEP_2)
	v_fma_f64 v[2:3], v[9:10], v[6:7], v[2:3]
	global_store_b128 v[13:14], v[0:3], off
.LBB117_39:
	s_nop 0
	s_sendmsg sendmsg(MSG_DEALLOC_VGPRS)
	s_endpgm
	.section	.rodata,"a",@progbits
	.p2align	6, 0x0
	.amdhsa_kernel _ZN9rocsparseL22gebsrmvn_mxn_16_kernelILj84ELj14ELj6E21rocsparse_complex_numIdEEEvi20rocsparse_direction_NS_24const_host_device_scalarIT2_EEPKiS8_PKS5_iiSA_S6_PS5_21rocsparse_index_base_b
		.amdhsa_group_segment_fixed_size 2688
		.amdhsa_private_segment_fixed_size 0
		.amdhsa_kernarg_size 96
		.amdhsa_user_sgpr_count 15
		.amdhsa_user_sgpr_dispatch_ptr 1
		.amdhsa_user_sgpr_queue_ptr 0
		.amdhsa_user_sgpr_kernarg_segment_ptr 1
		.amdhsa_user_sgpr_dispatch_id 0
		.amdhsa_user_sgpr_private_segment_size 0
		.amdhsa_wavefront_size32 1
		.amdhsa_uses_dynamic_stack 0
		.amdhsa_enable_private_segment 0
		.amdhsa_system_sgpr_workgroup_id_x 1
		.amdhsa_system_sgpr_workgroup_id_y 0
		.amdhsa_system_sgpr_workgroup_id_z 0
		.amdhsa_system_sgpr_workgroup_info 0
		.amdhsa_system_vgpr_workitem_id 2
		.amdhsa_next_free_vgpr 28
		.amdhsa_next_free_sgpr 18
		.amdhsa_reserve_vcc 1
		.amdhsa_float_round_mode_32 0
		.amdhsa_float_round_mode_16_64 0
		.amdhsa_float_denorm_mode_32 3
		.amdhsa_float_denorm_mode_16_64 3
		.amdhsa_dx10_clamp 1
		.amdhsa_ieee_mode 1
		.amdhsa_fp16_overflow 0
		.amdhsa_workgroup_processor_mode 1
		.amdhsa_memory_ordered 1
		.amdhsa_forward_progress 0
		.amdhsa_shared_vgpr_count 0
		.amdhsa_exception_fp_ieee_invalid_op 0
		.amdhsa_exception_fp_denorm_src 0
		.amdhsa_exception_fp_ieee_div_zero 0
		.amdhsa_exception_fp_ieee_overflow 0
		.amdhsa_exception_fp_ieee_underflow 0
		.amdhsa_exception_fp_ieee_inexact 0
		.amdhsa_exception_int_div_zero 0
	.end_amdhsa_kernel
	.section	.text._ZN9rocsparseL22gebsrmvn_mxn_16_kernelILj84ELj14ELj6E21rocsparse_complex_numIdEEEvi20rocsparse_direction_NS_24const_host_device_scalarIT2_EEPKiS8_PKS5_iiSA_S6_PS5_21rocsparse_index_base_b,"axG",@progbits,_ZN9rocsparseL22gebsrmvn_mxn_16_kernelILj84ELj14ELj6E21rocsparse_complex_numIdEEEvi20rocsparse_direction_NS_24const_host_device_scalarIT2_EEPKiS8_PKS5_iiSA_S6_PS5_21rocsparse_index_base_b,comdat
.Lfunc_end117:
	.size	_ZN9rocsparseL22gebsrmvn_mxn_16_kernelILj84ELj14ELj6E21rocsparse_complex_numIdEEEvi20rocsparse_direction_NS_24const_host_device_scalarIT2_EEPKiS8_PKS5_iiSA_S6_PS5_21rocsparse_index_base_b, .Lfunc_end117-_ZN9rocsparseL22gebsrmvn_mxn_16_kernelILj84ELj14ELj6E21rocsparse_complex_numIdEEEvi20rocsparse_direction_NS_24const_host_device_scalarIT2_EEPKiS8_PKS5_iiSA_S6_PS5_21rocsparse_index_base_b
                                        ; -- End function
	.section	.AMDGPU.csdata,"",@progbits
; Kernel info:
; codeLenInByte = 1744
; NumSgprs: 20
; NumVgprs: 28
; ScratchSize: 0
; MemoryBound: 0
; FloatMode: 240
; IeeeMode: 1
; LDSByteSize: 2688 bytes/workgroup (compile time only)
; SGPRBlocks: 2
; VGPRBlocks: 3
; NumSGPRsForWavesPerEU: 20
; NumVGPRsForWavesPerEU: 28
; Occupancy: 16
; WaveLimiterHint : 1
; COMPUTE_PGM_RSRC2:SCRATCH_EN: 0
; COMPUTE_PGM_RSRC2:USER_SGPR: 15
; COMPUTE_PGM_RSRC2:TRAP_HANDLER: 0
; COMPUTE_PGM_RSRC2:TGID_X_EN: 1
; COMPUTE_PGM_RSRC2:TGID_Y_EN: 0
; COMPUTE_PGM_RSRC2:TGID_Z_EN: 0
; COMPUTE_PGM_RSRC2:TIDIG_COMP_CNT: 2
	.section	.text._ZN9rocsparseL22gebsrmvn_mxn_16_kernelILj98ELj14ELj7E21rocsparse_complex_numIdEEEvi20rocsparse_direction_NS_24const_host_device_scalarIT2_EEPKiS8_PKS5_iiSA_S6_PS5_21rocsparse_index_base_b,"axG",@progbits,_ZN9rocsparseL22gebsrmvn_mxn_16_kernelILj98ELj14ELj7E21rocsparse_complex_numIdEEEvi20rocsparse_direction_NS_24const_host_device_scalarIT2_EEPKiS8_PKS5_iiSA_S6_PS5_21rocsparse_index_base_b,comdat
	.globl	_ZN9rocsparseL22gebsrmvn_mxn_16_kernelILj98ELj14ELj7E21rocsparse_complex_numIdEEEvi20rocsparse_direction_NS_24const_host_device_scalarIT2_EEPKiS8_PKS5_iiSA_S6_PS5_21rocsparse_index_base_b ; -- Begin function _ZN9rocsparseL22gebsrmvn_mxn_16_kernelILj98ELj14ELj7E21rocsparse_complex_numIdEEEvi20rocsparse_direction_NS_24const_host_device_scalarIT2_EEPKiS8_PKS5_iiSA_S6_PS5_21rocsparse_index_base_b
	.p2align	8
	.type	_ZN9rocsparseL22gebsrmvn_mxn_16_kernelILj98ELj14ELj7E21rocsparse_complex_numIdEEEvi20rocsparse_direction_NS_24const_host_device_scalarIT2_EEPKiS8_PKS5_iiSA_S6_PS5_21rocsparse_index_base_b,@function
_ZN9rocsparseL22gebsrmvn_mxn_16_kernelILj98ELj14ELj7E21rocsparse_complex_numIdEEEvi20rocsparse_direction_NS_24const_host_device_scalarIT2_EEPKiS8_PKS5_iiSA_S6_PS5_21rocsparse_index_base_b: ; @_ZN9rocsparseL22gebsrmvn_mxn_16_kernelILj98ELj14ELj7E21rocsparse_complex_numIdEEEvi20rocsparse_direction_NS_24const_host_device_scalarIT2_EEPKiS8_PKS5_iiSA_S6_PS5_21rocsparse_index_base_b
; %bb.0:
	s_mov_b32 s12, s15
	s_load_b64 s[14:15], s[2:3], 0x58
	s_load_b64 s[16:17], s[0:1], 0x4
	s_load_b128 s[8:11], s[2:3], 0x8
	v_bfe_u32 v1, v0, 10, 10
	s_mov_b64 s[0:1], src_shared_base
	s_load_b128 s[4:7], s[2:3], 0x40
	v_and_b32_e32 v8, 0x3ff, v0
	v_bfe_u32 v0, v0, 20, 10
	s_waitcnt lgkmcnt(0)
	s_bitcmp1_b32 s15, 0
	v_mul_u32_u24_e32 v1, s17, v1
	s_cselect_b32 s0, -1, 0
	v_mov_b32_e32 v16, s11
	s_and_b32 vcc_lo, s0, exec_lo
	s_cselect_b32 s13, s1, s9
	s_lshr_b32 s15, s16, 16
	v_dual_mov_b32 v2, s4 :: v_dual_mov_b32 v5, s13
	s_mul_i32 s15, s15, s17
	v_mov_b32_e32 v3, s5
	v_mad_u32_u24 v1, s15, v8, v1
	v_mov_b32_e32 v15, s10
	s_xor_b32 s10, s0, -1
	s_delay_alu instid0(VALU_DEP_2) | instskip(SKIP_1) | instid1(VALU_DEP_2)
	v_add_lshl_u32 v6, v1, v0, 3
	v_dual_mov_b32 v0, s8 :: v_dual_mov_b32 v1, s9
	v_add_nc_u32_e32 v7, 0x400, v6
	v_add_nc_u32_e32 v4, 0x930, v6
	ds_store_2addr_b64 v7, v[2:3], v[0:1] offset0:68 offset1:166
	v_cndmask_b32_e64 v4, s8, v4, s0
	v_add_nc_u32_e32 v0, 0x620, v6
	flat_load_b64 v[13:14], v[4:5]
	s_cbranch_vccnz .LBB118_2
; %bb.1:
	v_dual_mov_b32 v1, s8 :: v_dual_mov_b32 v2, s9
	flat_load_b64 v[15:16], v[1:2] offset:8
.LBB118_2:
	s_and_b32 s8, s0, exec_lo
	s_cselect_b32 s1, s1, s5
	v_cndmask_b32_e64 v0, s4, v0, s0
	v_dual_mov_b32 v1, s1 :: v_dual_mov_b32 v12, s7
	v_mov_b32_e32 v11, s6
	s_and_not1_b32 vcc_lo, exec_lo, s10
	flat_load_b64 v[9:10], v[0:1]
	s_cbranch_vccnz .LBB118_4
; %bb.3:
	v_dual_mov_b32 v0, s4 :: v_dual_mov_b32 v1, s5
	flat_load_b64 v[11:12], v[0:1] offset:8
.LBB118_4:
	s_waitcnt vmcnt(1) lgkmcnt(1)
	v_cmp_eq_f64_e32 vcc_lo, 0, v[13:14]
	v_cmp_eq_f64_e64 s0, 0, v[15:16]
	s_delay_alu instid0(VALU_DEP_1)
	s_and_b32 s4, vcc_lo, s0
	s_mov_b32 s0, -1
	s_and_saveexec_b32 s1, s4
	s_cbranch_execz .LBB118_6
; %bb.5:
	s_waitcnt vmcnt(0) lgkmcnt(0)
	v_cmp_neq_f64_e32 vcc_lo, 1.0, v[9:10]
	v_cmp_neq_f64_e64 s0, 0, v[11:12]
	s_delay_alu instid0(VALU_DEP_1) | instskip(NEXT) | instid1(SALU_CYCLE_1)
	s_or_b32 s0, vcc_lo, s0
	s_or_not1_b32 s0, s0, exec_lo
.LBB118_6:
	s_or_b32 exec_lo, exec_lo, s1
	s_and_saveexec_b32 s1, s0
	s_cbranch_execz .LBB118_39
; %bb.7:
	v_mul_u32_u24_e32 v0, 0x2493, v8
	s_clause 0x1
	s_load_b32 s4, s[2:3], 0x4
	s_load_b64 s[0:1], s[2:3], 0x18
	s_delay_alu instid0(VALU_DEP_1) | instskip(NEXT) | instid1(VALU_DEP_1)
	v_lshrrev_b32_e32 v0, 16, v0
	v_mul_lo_u16 v0, v0, 7
	s_delay_alu instid0(VALU_DEP_1) | instskip(NEXT) | instid1(VALU_DEP_1)
	v_sub_nc_u16 v0, v8, v0
	v_and_b32_e32 v7, 0xffff, v0
	s_waitcnt lgkmcnt(0)
	s_cmp_lg_u32 s4, 1
	v_and_b32_e32 v5, 0xffff, v8
	s_cselect_b32 s15, -1, 0
	v_mov_b32_e32 v4, v7
	s_and_b32 vcc_lo, exec_lo, s15
	s_cbranch_vccnz .LBB118_9
; %bb.8:
	v_mul_u32_u24_e32 v0, 0x124a, v5
	s_delay_alu instid0(VALU_DEP_1) | instskip(NEXT) | instid1(VALU_DEP_1)
	v_lshrrev_b32_e32 v0, 16, v0
	v_mul_lo_u16 v1, v0, 37
	s_delay_alu instid0(VALU_DEP_1) | instskip(NEXT) | instid1(VALU_DEP_1)
	v_lshrrev_b16 v1, 8, v1
	v_mul_lo_u16 v1, v1, 7
	s_delay_alu instid0(VALU_DEP_1) | instskip(NEXT) | instid1(VALU_DEP_1)
	v_sub_nc_u16 v0, v0, v1
	v_and_b32_e32 v4, 0xff, v0
.LBB118_9:
	s_ashr_i32 s13, s12, 31
	v_mov_b32_e32 v2, 0
	s_lshl_b64 s[4:5], s[12:13], 2
	v_mov_b32_e32 v3, 0
	s_add_u32 s0, s0, s4
	s_addc_u32 s1, s1, s5
	v_mov_b32_e32 v0, v2
	s_load_b64 s[10:11], s[0:1], 0x0
	s_load_b64 s[8:9], s[2:3], 0x50
	v_mov_b32_e32 v1, v3
	s_waitcnt lgkmcnt(0)
	s_cmp_ge_i32 s10, s11
	s_cbranch_scc1 .LBB118_14
; %bb.10:
	s_clause 0x1
	s_load_b128 s[4:7], s[2:3], 0x20
	s_load_b64 s[0:1], s[2:3], 0x38
	s_waitcnt vmcnt(0)
	v_mad_u64_u32 v[0:1], null, 0x62, s10, v[8:9]
	v_mov_b32_e32 v2, 0
	v_mul_u32_u24_e32 v1, 0x29d, v5
	v_dual_mov_b32 v3, 0 :: v_dual_mov_b32 v6, 0
	s_mul_i32 s2, s14, 0x62
	s_sub_i32 s3, s10, s14
	s_delay_alu instid0(VALU_DEP_2)
	v_lshrrev_b32_e32 v19, 16, v1
	v_subrev_nc_u32_e32 v5, s2, v0
	v_dual_mov_b32 v0, v2 :: v_dual_mov_b32 v1, v3
	s_sub_i32 s2, s11, s14
	s_set_inst_prefetch_distance 0x1
	s_branch .LBB118_12
	.p2align	6
.LBB118_11:                             ;   in Loop: Header=BB118_12 Depth=1
	s_or_b32 exec_lo, exec_lo, s10
	v_add_nc_u32_e32 v5, 0x62, v5
	s_add_i32 s3, s3, 1
	s_delay_alu instid0(SALU_CYCLE_1)
	s_cmp_ge_i32 s3, s2
	s_cbranch_scc1 .LBB118_14
.LBB118_12:                             ; =>This Inner Loop Header: Depth=1
	v_add_nc_u32_e32 v17, s3, v19
	s_mov_b32 s10, exec_lo
	s_delay_alu instid0(VALU_DEP_1)
	v_cmpx_gt_i32_e64 s2, v17
	s_cbranch_execz .LBB118_11
; %bb.13:                               ;   in Loop: Header=BB118_12 Depth=1
	v_ashrrev_i32_e32 v18, 31, v17
	s_delay_alu instid0(VALU_DEP_1) | instskip(SKIP_1) | instid1(VALU_DEP_1)
	v_lshlrev_b64 v[17:18], 2, v[17:18]
	s_waitcnt lgkmcnt(0)
	v_add_co_u32 v17, vcc_lo, s4, v17
	s_delay_alu instid0(VALU_DEP_2) | instskip(SKIP_3) | instid1(VALU_DEP_1)
	v_add_co_ci_u32_e32 v18, vcc_lo, s5, v18, vcc_lo
	global_load_b32 v17, v[17:18], off
	s_waitcnt vmcnt(0)
	v_subrev_nc_u32_e32 v20, s14, v17
	v_mad_u64_u32 v[17:18], null, v20, 7, v[4:5]
	v_lshlrev_b64 v[20:21], 4, v[5:6]
	s_delay_alu instid0(VALU_DEP_1) | instskip(NEXT) | instid1(VALU_DEP_3)
	v_add_co_u32 v20, vcc_lo, s6, v20
	v_ashrrev_i32_e32 v18, 31, v17
	s_delay_alu instid0(VALU_DEP_3) | instskip(NEXT) | instid1(VALU_DEP_2)
	v_add_co_ci_u32_e32 v21, vcc_lo, s7, v21, vcc_lo
	v_lshlrev_b64 v[17:18], 4, v[17:18]
	s_delay_alu instid0(VALU_DEP_1) | instskip(NEXT) | instid1(VALU_DEP_2)
	v_add_co_u32 v17, vcc_lo, s0, v17
	v_add_co_ci_u32_e32 v18, vcc_lo, s1, v18, vcc_lo
	global_load_b128 v[20:23], v[20:21], off
	global_load_b128 v[24:27], v[17:18], off
	s_waitcnt vmcnt(0)
	v_fma_f64 v[0:1], v[20:21], v[24:25], v[0:1]
	v_fma_f64 v[2:3], v[22:23], v[24:25], v[2:3]
	s_delay_alu instid0(VALU_DEP_2) | instskip(NEXT) | instid1(VALU_DEP_2)
	v_fma_f64 v[0:1], -v[22:23], v[26:27], v[0:1]
	v_fma_f64 v[2:3], v[20:21], v[26:27], v[2:3]
	s_branch .LBB118_11
.LBB118_14:
	s_set_inst_prefetch_distance 0x2
	v_lshlrev_b32_e32 v17, 4, v8
	s_and_b32 vcc_lo, exec_lo, s15
	ds_store_b128 v17, v[0:3]
	s_waitcnt vmcnt(0) lgkmcnt(0)
	s_barrier
	buffer_gl0_inv
	s_cbranch_vccz .LBB118_24
; %bb.15:
	s_mov_b32 s0, exec_lo
	v_cmpx_gt_u16_e32 3, v7
	s_cbranch_execz .LBB118_17
; %bb.16:
	ds_load_b128 v[18:21], v17 offset:64
	ds_load_b128 v[22:25], v17
	s_waitcnt lgkmcnt(0)
	v_add_f64 v[18:19], v[18:19], v[22:23]
	v_add_f64 v[20:21], v[20:21], v[24:25]
	ds_store_b128 v17, v[18:21]
.LBB118_17:
	s_or_b32 exec_lo, exec_lo, s0
	s_delay_alu instid0(SALU_CYCLE_1)
	s_mov_b32 s0, exec_lo
	s_waitcnt lgkmcnt(0)
	s_barrier
	buffer_gl0_inv
	v_cmpx_gt_u16_e32 2, v7
	s_cbranch_execz .LBB118_19
; %bb.18:
	ds_load_b128 v[18:21], v17
	ds_load_b128 v[22:25], v17 offset:32
	s_waitcnt lgkmcnt(0)
	v_add_f64 v[18:19], v[22:23], v[18:19]
	v_add_f64 v[20:21], v[24:25], v[20:21]
	ds_store_b128 v17, v[18:21]
.LBB118_19:
	s_or_b32 exec_lo, exec_lo, s0
	s_delay_alu instid0(SALU_CYCLE_1)
	s_mov_b32 s0, exec_lo
	s_waitcnt lgkmcnt(0)
	s_barrier
	buffer_gl0_inv
	v_cmpx_eq_u16_e32 0, v7
	s_cbranch_execz .LBB118_21
; %bb.20:
	ds_load_b128 v[4:7], v17
	ds_load_b128 v[18:21], v17 offset:16
	s_waitcnt lgkmcnt(0)
	v_add_f64 v[4:5], v[18:19], v[4:5]
	v_add_f64 v[6:7], v[20:21], v[6:7]
	ds_store_b128 v17, v[4:7]
.LBB118_21:
	s_or_b32 exec_lo, exec_lo, s0
	v_dual_mov_b32 v7, v3 :: v_dual_mov_b32 v6, v2
	v_dual_mov_b32 v5, v1 :: v_dual_mov_b32 v4, v0
	s_mov_b32 s0, exec_lo
	s_waitcnt lgkmcnt(0)
	s_barrier
	buffer_gl0_inv
	v_cmpx_gt_u32_e32 14, v8
	s_cbranch_execz .LBB118_23
; %bb.22:
	v_mad_u32_u24 v4, 0x60, v8, v17
	ds_load_b128 v[4:7], v4
.LBB118_23:
	s_or_b32 exec_lo, exec_lo, s0
	s_branch .LBB118_34
.LBB118_24:
                                        ; implicit-def: $vgpr6_vgpr7
	s_cbranch_execz .LBB118_34
; %bb.25:
	s_mov_b32 s0, exec_lo
	v_cmpx_gt_u32_e32 42, v8
	s_cbranch_execz .LBB118_27
; %bb.26:
	s_waitcnt lgkmcnt(0)
	ds_load_b128 v[4:7], v17 offset:896
	ds_load_b128 v[18:21], v17
	s_waitcnt lgkmcnt(0)
	v_add_f64 v[4:5], v[4:5], v[18:19]
	v_add_f64 v[6:7], v[6:7], v[20:21]
	ds_store_b128 v17, v[4:7]
.LBB118_27:
	s_or_b32 exec_lo, exec_lo, s0
	s_delay_alu instid0(SALU_CYCLE_1)
	s_mov_b32 s0, exec_lo
	s_waitcnt lgkmcnt(0)
	s_barrier
	buffer_gl0_inv
	v_cmpx_gt_u32_e32 28, v8
	s_cbranch_execz .LBB118_29
; %bb.28:
	ds_load_b128 v[4:7], v17 offset:448
	ds_load_b128 v[18:21], v17
	s_waitcnt lgkmcnt(0)
	v_add_f64 v[4:5], v[4:5], v[18:19]
	v_add_f64 v[6:7], v[6:7], v[20:21]
	ds_store_b128 v17, v[4:7]
.LBB118_29:
	s_or_b32 exec_lo, exec_lo, s0
	s_delay_alu instid0(SALU_CYCLE_1)
	s_mov_b32 s0, exec_lo
	s_waitcnt lgkmcnt(0)
	buffer_gl0_inv
	v_cmpx_lt_u32_e32 13, v8
	s_xor_b32 s0, exec_lo, s0
	s_cbranch_execz .LBB118_31
; %bb.30:
	buffer_gl0_inv
                                        ; implicit-def: $vgpr17
.LBB118_31:
	s_and_not1_saveexec_b32 s0, s0
	s_cbranch_execz .LBB118_33
; %bb.32:
	ds_load_b128 v[0:3], v17 offset:224
	ds_load_b128 v[4:7], v17
	s_waitcnt lgkmcnt(0)
	v_add_f64 v[0:1], v[0:1], v[4:5]
	v_add_f64 v[2:3], v[2:3], v[6:7]
	ds_store_b128 v17, v[0:3]
	s_waitcnt lgkmcnt(0)
	buffer_gl0_inv
	ds_load_b128 v[0:3], v17
.LBB118_33:
	s_or_b32 exec_lo, exec_lo, s0
	s_waitcnt lgkmcnt(0)
	v_dual_mov_b32 v7, v3 :: v_dual_mov_b32 v6, v2
	v_dual_mov_b32 v5, v1 :: v_dual_mov_b32 v4, v0
.LBB118_34:
	v_cmp_gt_u32_e32 vcc_lo, 14, v8
	s_and_b32 exec_lo, exec_lo, vcc_lo
	s_cbranch_execz .LBB118_39
; %bb.35:
	s_waitcnt lgkmcnt(0)
	v_mul_f64 v[0:1], v[6:7], -v[15:16]
	v_mul_f64 v[2:3], v[13:14], v[6:7]
	v_cmp_eq_f64_e32 vcc_lo, 0, v[9:10]
	v_cmp_eq_f64_e64 s0, 0, v[11:12]
	s_delay_alu instid0(VALU_DEP_4) | instskip(NEXT) | instid1(VALU_DEP_4)
	v_fma_f64 v[0:1], v[13:14], v[4:5], v[0:1]
	v_fma_f64 v[2:3], v[15:16], v[4:5], v[2:3]
	s_delay_alu instid0(VALU_DEP_3) | instskip(NEXT) | instid1(SALU_CYCLE_1)
	s_and_b32 s0, vcc_lo, s0
	s_and_saveexec_b32 s1, s0
	s_delay_alu instid0(SALU_CYCLE_1)
	s_xor_b32 s0, exec_lo, s1
	s_cbranch_execz .LBB118_37
; %bb.36:
	v_mad_u64_u32 v[4:5], null, s12, 14, v[8:9]
	v_mov_b32_e32 v5, 0
                                        ; implicit-def: $vgpr8
                                        ; implicit-def: $vgpr9_vgpr10
                                        ; implicit-def: $vgpr11_vgpr12
	s_delay_alu instid0(VALU_DEP_1) | instskip(NEXT) | instid1(VALU_DEP_1)
	v_lshlrev_b64 v[4:5], 4, v[4:5]
	v_add_co_u32 v4, vcc_lo, s8, v4
	s_delay_alu instid0(VALU_DEP_2)
	v_add_co_ci_u32_e32 v5, vcc_lo, s9, v5, vcc_lo
	global_store_b128 v[4:5], v[0:3], off
                                        ; implicit-def: $vgpr0_vgpr1
.LBB118_37:
	s_and_not1_saveexec_b32 s0, s0
	s_cbranch_execz .LBB118_39
; %bb.38:
	v_mad_u64_u32 v[4:5], null, s12, 14, v[8:9]
	v_mov_b32_e32 v5, 0
	s_delay_alu instid0(VALU_DEP_1) | instskip(NEXT) | instid1(VALU_DEP_1)
	v_lshlrev_b64 v[4:5], 4, v[4:5]
	v_add_co_u32 v13, vcc_lo, s8, v4
	s_delay_alu instid0(VALU_DEP_2) | instskip(SKIP_4) | instid1(VALU_DEP_2)
	v_add_co_ci_u32_e32 v14, vcc_lo, s9, v5, vcc_lo
	global_load_b128 v[4:7], v[13:14], off
	s_waitcnt vmcnt(0)
	v_fma_f64 v[0:1], v[9:10], v[4:5], v[0:1]
	v_fma_f64 v[2:3], v[11:12], v[4:5], v[2:3]
	v_fma_f64 v[0:1], -v[11:12], v[6:7], v[0:1]
	s_delay_alu instid0(VALU_DEP_2)
	v_fma_f64 v[2:3], v[9:10], v[6:7], v[2:3]
	global_store_b128 v[13:14], v[0:3], off
.LBB118_39:
	s_nop 0
	s_sendmsg sendmsg(MSG_DEALLOC_VGPRS)
	s_endpgm
	.section	.rodata,"a",@progbits
	.p2align	6, 0x0
	.amdhsa_kernel _ZN9rocsparseL22gebsrmvn_mxn_16_kernelILj98ELj14ELj7E21rocsparse_complex_numIdEEEvi20rocsparse_direction_NS_24const_host_device_scalarIT2_EEPKiS8_PKS5_iiSA_S6_PS5_21rocsparse_index_base_b
		.amdhsa_group_segment_fixed_size 3136
		.amdhsa_private_segment_fixed_size 0
		.amdhsa_kernarg_size 96
		.amdhsa_user_sgpr_count 15
		.amdhsa_user_sgpr_dispatch_ptr 1
		.amdhsa_user_sgpr_queue_ptr 0
		.amdhsa_user_sgpr_kernarg_segment_ptr 1
		.amdhsa_user_sgpr_dispatch_id 0
		.amdhsa_user_sgpr_private_segment_size 0
		.amdhsa_wavefront_size32 1
		.amdhsa_uses_dynamic_stack 0
		.amdhsa_enable_private_segment 0
		.amdhsa_system_sgpr_workgroup_id_x 1
		.amdhsa_system_sgpr_workgroup_id_y 0
		.amdhsa_system_sgpr_workgroup_id_z 0
		.amdhsa_system_sgpr_workgroup_info 0
		.amdhsa_system_vgpr_workitem_id 2
		.amdhsa_next_free_vgpr 28
		.amdhsa_next_free_sgpr 18
		.amdhsa_reserve_vcc 1
		.amdhsa_float_round_mode_32 0
		.amdhsa_float_round_mode_16_64 0
		.amdhsa_float_denorm_mode_32 3
		.amdhsa_float_denorm_mode_16_64 3
		.amdhsa_dx10_clamp 1
		.amdhsa_ieee_mode 1
		.amdhsa_fp16_overflow 0
		.amdhsa_workgroup_processor_mode 1
		.amdhsa_memory_ordered 1
		.amdhsa_forward_progress 0
		.amdhsa_shared_vgpr_count 0
		.amdhsa_exception_fp_ieee_invalid_op 0
		.amdhsa_exception_fp_denorm_src 0
		.amdhsa_exception_fp_ieee_div_zero 0
		.amdhsa_exception_fp_ieee_overflow 0
		.amdhsa_exception_fp_ieee_underflow 0
		.amdhsa_exception_fp_ieee_inexact 0
		.amdhsa_exception_int_div_zero 0
	.end_amdhsa_kernel
	.section	.text._ZN9rocsparseL22gebsrmvn_mxn_16_kernelILj98ELj14ELj7E21rocsparse_complex_numIdEEEvi20rocsparse_direction_NS_24const_host_device_scalarIT2_EEPKiS8_PKS5_iiSA_S6_PS5_21rocsparse_index_base_b,"axG",@progbits,_ZN9rocsparseL22gebsrmvn_mxn_16_kernelILj98ELj14ELj7E21rocsparse_complex_numIdEEEvi20rocsparse_direction_NS_24const_host_device_scalarIT2_EEPKiS8_PKS5_iiSA_S6_PS5_21rocsparse_index_base_b,comdat
.Lfunc_end118:
	.size	_ZN9rocsparseL22gebsrmvn_mxn_16_kernelILj98ELj14ELj7E21rocsparse_complex_numIdEEEvi20rocsparse_direction_NS_24const_host_device_scalarIT2_EEPKiS8_PKS5_iiSA_S6_PS5_21rocsparse_index_base_b, .Lfunc_end118-_ZN9rocsparseL22gebsrmvn_mxn_16_kernelILj98ELj14ELj7E21rocsparse_complex_numIdEEEvi20rocsparse_direction_NS_24const_host_device_scalarIT2_EEPKiS8_PKS5_iiSA_S6_PS5_21rocsparse_index_base_b
                                        ; -- End function
	.section	.AMDGPU.csdata,"",@progbits
; Kernel info:
; codeLenInByte = 1768
; NumSgprs: 20
; NumVgprs: 28
; ScratchSize: 0
; MemoryBound: 0
; FloatMode: 240
; IeeeMode: 1
; LDSByteSize: 3136 bytes/workgroup (compile time only)
; SGPRBlocks: 2
; VGPRBlocks: 3
; NumSGPRsForWavesPerEU: 20
; NumVGPRsForWavesPerEU: 28
; Occupancy: 16
; WaveLimiterHint : 1
; COMPUTE_PGM_RSRC2:SCRATCH_EN: 0
; COMPUTE_PGM_RSRC2:USER_SGPR: 15
; COMPUTE_PGM_RSRC2:TRAP_HANDLER: 0
; COMPUTE_PGM_RSRC2:TGID_X_EN: 1
; COMPUTE_PGM_RSRC2:TGID_Y_EN: 0
; COMPUTE_PGM_RSRC2:TGID_Z_EN: 0
; COMPUTE_PGM_RSRC2:TIDIG_COMP_CNT: 2
	.section	.text._ZN9rocsparseL22gebsrmvn_mxn_16_kernelILj112ELj14ELj8E21rocsparse_complex_numIdEEEvi20rocsparse_direction_NS_24const_host_device_scalarIT2_EEPKiS8_PKS5_iiSA_S6_PS5_21rocsparse_index_base_b,"axG",@progbits,_ZN9rocsparseL22gebsrmvn_mxn_16_kernelILj112ELj14ELj8E21rocsparse_complex_numIdEEEvi20rocsparse_direction_NS_24const_host_device_scalarIT2_EEPKiS8_PKS5_iiSA_S6_PS5_21rocsparse_index_base_b,comdat
	.globl	_ZN9rocsparseL22gebsrmvn_mxn_16_kernelILj112ELj14ELj8E21rocsparse_complex_numIdEEEvi20rocsparse_direction_NS_24const_host_device_scalarIT2_EEPKiS8_PKS5_iiSA_S6_PS5_21rocsparse_index_base_b ; -- Begin function _ZN9rocsparseL22gebsrmvn_mxn_16_kernelILj112ELj14ELj8E21rocsparse_complex_numIdEEEvi20rocsparse_direction_NS_24const_host_device_scalarIT2_EEPKiS8_PKS5_iiSA_S6_PS5_21rocsparse_index_base_b
	.p2align	8
	.type	_ZN9rocsparseL22gebsrmvn_mxn_16_kernelILj112ELj14ELj8E21rocsparse_complex_numIdEEEvi20rocsparse_direction_NS_24const_host_device_scalarIT2_EEPKiS8_PKS5_iiSA_S6_PS5_21rocsparse_index_base_b,@function
_ZN9rocsparseL22gebsrmvn_mxn_16_kernelILj112ELj14ELj8E21rocsparse_complex_numIdEEEvi20rocsparse_direction_NS_24const_host_device_scalarIT2_EEPKiS8_PKS5_iiSA_S6_PS5_21rocsparse_index_base_b: ; @_ZN9rocsparseL22gebsrmvn_mxn_16_kernelILj112ELj14ELj8E21rocsparse_complex_numIdEEEvi20rocsparse_direction_NS_24const_host_device_scalarIT2_EEPKiS8_PKS5_iiSA_S6_PS5_21rocsparse_index_base_b
; %bb.0:
	s_mov_b32 s12, s15
	s_load_b64 s[14:15], s[2:3], 0x58
	s_load_b64 s[16:17], s[0:1], 0x4
	s_load_b128 s[8:11], s[2:3], 0x8
	v_bfe_u32 v1, v0, 10, 10
	s_mov_b64 s[0:1], src_shared_base
	s_load_b128 s[4:7], s[2:3], 0x40
	v_and_b32_e32 v8, 0x3ff, v0
	v_bfe_u32 v0, v0, 20, 10
	s_waitcnt lgkmcnt(0)
	s_bitcmp1_b32 s15, 0
	v_mul_u32_u24_e32 v1, s17, v1
	s_cselect_b32 s0, -1, 0
	v_mov_b32_e32 v16, s11
	s_and_b32 vcc_lo, s0, exec_lo
	s_cselect_b32 s13, s1, s9
	s_lshr_b32 s15, s16, 16
	v_dual_mov_b32 v2, s4 :: v_dual_mov_b32 v5, s13
	s_mul_i32 s15, s15, s17
	v_mov_b32_e32 v3, s5
	v_mad_u32_u24 v1, s15, v8, v1
	v_mov_b32_e32 v15, s10
	s_xor_b32 s10, s0, -1
	s_delay_alu instid0(VALU_DEP_2) | instskip(SKIP_1) | instid1(VALU_DEP_2)
	v_add_lshl_u32 v6, v1, v0, 3
	v_dual_mov_b32 v0, s8 :: v_dual_mov_b32 v1, s9
	v_add_nc_u32_e32 v7, 0x400, v6
	v_add_nc_u32_e32 v4, 0xa80, v6
	ds_store_2addr_b64 v7, v[2:3], v[0:1] offset0:96 offset1:208
	v_cndmask_b32_e64 v4, s8, v4, s0
	v_add_nc_u32_e32 v0, 0x700, v6
	flat_load_b64 v[13:14], v[4:5]
	s_cbranch_vccnz .LBB119_2
; %bb.1:
	v_dual_mov_b32 v1, s8 :: v_dual_mov_b32 v2, s9
	flat_load_b64 v[15:16], v[1:2] offset:8
.LBB119_2:
	s_and_b32 s8, s0, exec_lo
	s_cselect_b32 s1, s1, s5
	v_cndmask_b32_e64 v0, s4, v0, s0
	v_dual_mov_b32 v1, s1 :: v_dual_mov_b32 v12, s7
	v_mov_b32_e32 v11, s6
	s_and_not1_b32 vcc_lo, exec_lo, s10
	flat_load_b64 v[9:10], v[0:1]
	s_cbranch_vccnz .LBB119_4
; %bb.3:
	v_dual_mov_b32 v0, s4 :: v_dual_mov_b32 v1, s5
	flat_load_b64 v[11:12], v[0:1] offset:8
.LBB119_4:
	s_waitcnt vmcnt(1) lgkmcnt(1)
	v_cmp_eq_f64_e32 vcc_lo, 0, v[13:14]
	v_cmp_eq_f64_e64 s0, 0, v[15:16]
	s_delay_alu instid0(VALU_DEP_1)
	s_and_b32 s4, vcc_lo, s0
	s_mov_b32 s0, -1
	s_and_saveexec_b32 s1, s4
	s_cbranch_execz .LBB119_6
; %bb.5:
	s_waitcnt vmcnt(0) lgkmcnt(0)
	v_cmp_neq_f64_e32 vcc_lo, 1.0, v[9:10]
	v_cmp_neq_f64_e64 s0, 0, v[11:12]
	s_delay_alu instid0(VALU_DEP_1) | instskip(NEXT) | instid1(SALU_CYCLE_1)
	s_or_b32 s0, vcc_lo, s0
	s_or_not1_b32 s0, s0, exec_lo
.LBB119_6:
	s_or_b32 exec_lo, exec_lo, s1
	s_and_saveexec_b32 s1, s0
	s_cbranch_execz .LBB119_39
; %bb.7:
	s_clause 0x1
	s_load_b32 s4, s[2:3], 0x4
	s_load_b64 s[0:1], s[2:3], 0x18
	v_and_b32_e32 v18, 7, v8
	s_delay_alu instid0(VALU_DEP_1) | instskip(SKIP_3) | instid1(SALU_CYCLE_1)
	v_mov_b32_e32 v17, v18
	s_waitcnt lgkmcnt(0)
	s_cmp_lg_u32 s4, 1
	s_cselect_b32 s15, -1, 0
	s_and_b32 vcc_lo, exec_lo, s15
	s_cbranch_vccnz .LBB119_9
; %bb.8:
	v_mul_u32_u24_e32 v0, 0x124a, v8
	s_delay_alu instid0(VALU_DEP_1)
	v_bfe_u32 v17, v0, 16, 3
.LBB119_9:
	s_ashr_i32 s13, s12, 31
	v_mov_b32_e32 v2, 0
	s_lshl_b64 s[4:5], s[12:13], 2
	v_mov_b32_e32 v3, 0
	s_add_u32 s0, s0, s4
	s_addc_u32 s1, s1, s5
	v_mov_b32_e32 v0, v2
	s_load_b64 s[10:11], s[0:1], 0x0
	s_load_b64 s[8:9], s[2:3], 0x50
	v_mov_b32_e32 v1, v3
	s_waitcnt lgkmcnt(0)
	s_cmp_ge_i32 s10, s11
	s_cbranch_scc1 .LBB119_14
; %bb.10:
	s_clause 0x1
	s_load_b128 s[4:7], s[2:3], 0x20
	s_load_b64 s[0:1], s[2:3], 0x38
	s_waitcnt vmcnt(0)
	v_mad_u64_u32 v[0:1], null, 0x70, s10, v[8:9]
	v_dual_mov_b32 v2, 0 :: v_dual_mov_b32 v5, 0
	v_mul_u32_u24_e32 v1, 0x24a, v8
	v_mov_b32_e32 v3, 0
	s_mul_i32 s2, s14, 0x70
	s_sub_i32 s3, s10, s14
	s_delay_alu instid0(VALU_DEP_4)
	v_subrev_nc_u32_e32 v4, s2, v0
	v_lshrrev_b32_e32 v19, 16, v1
	v_dual_mov_b32 v0, v2 :: v_dual_mov_b32 v1, v3
	s_sub_i32 s2, s11, s14
	s_set_inst_prefetch_distance 0x1
	s_branch .LBB119_12
	.p2align	6
.LBB119_11:                             ;   in Loop: Header=BB119_12 Depth=1
	s_or_b32 exec_lo, exec_lo, s10
	v_add_nc_u32_e32 v4, 0x70, v4
	s_add_i32 s3, s3, 1
	s_delay_alu instid0(SALU_CYCLE_1)
	s_cmp_ge_i32 s3, s2
	s_cbranch_scc1 .LBB119_14
.LBB119_12:                             ; =>This Inner Loop Header: Depth=1
	v_add_nc_u32_e32 v6, s3, v19
	s_mov_b32 s10, exec_lo
	s_delay_alu instid0(VALU_DEP_1)
	v_cmpx_gt_i32_e64 s2, v6
	s_cbranch_execz .LBB119_11
; %bb.13:                               ;   in Loop: Header=BB119_12 Depth=1
	v_ashrrev_i32_e32 v7, 31, v6
	v_lshlrev_b64 v[20:21], 4, v[4:5]
	s_delay_alu instid0(VALU_DEP_2) | instskip(SKIP_1) | instid1(VALU_DEP_1)
	v_lshlrev_b64 v[6:7], 2, v[6:7]
	s_waitcnt lgkmcnt(0)
	v_add_co_u32 v6, vcc_lo, s4, v6
	s_delay_alu instid0(VALU_DEP_2) | instskip(NEXT) | instid1(VALU_DEP_4)
	v_add_co_ci_u32_e32 v7, vcc_lo, s5, v7, vcc_lo
	v_add_co_u32 v20, vcc_lo, s6, v20
	v_add_co_ci_u32_e32 v21, vcc_lo, s7, v21, vcc_lo
	global_load_b32 v6, v[6:7], off
	s_waitcnt vmcnt(0)
	v_subrev_nc_u32_e32 v6, s14, v6
	s_delay_alu instid0(VALU_DEP_1) | instskip(NEXT) | instid1(VALU_DEP_1)
	v_lshl_or_b32 v6, v6, 3, v17
	v_ashrrev_i32_e32 v7, 31, v6
	s_delay_alu instid0(VALU_DEP_1) | instskip(NEXT) | instid1(VALU_DEP_1)
	v_lshlrev_b64 v[6:7], 4, v[6:7]
	v_add_co_u32 v6, vcc_lo, s0, v6
	s_delay_alu instid0(VALU_DEP_2)
	v_add_co_ci_u32_e32 v7, vcc_lo, s1, v7, vcc_lo
	global_load_b128 v[20:23], v[20:21], off
	global_load_b128 v[24:27], v[6:7], off
	s_waitcnt vmcnt(0)
	v_fma_f64 v[0:1], v[20:21], v[24:25], v[0:1]
	v_fma_f64 v[2:3], v[22:23], v[24:25], v[2:3]
	s_delay_alu instid0(VALU_DEP_2) | instskip(NEXT) | instid1(VALU_DEP_2)
	v_fma_f64 v[0:1], -v[22:23], v[26:27], v[0:1]
	v_fma_f64 v[2:3], v[20:21], v[26:27], v[2:3]
	s_branch .LBB119_11
.LBB119_14:
	s_set_inst_prefetch_distance 0x2
	v_lshlrev_b32_e32 v17, 4, v8
	s_and_b32 vcc_lo, exec_lo, s15
	ds_store_b128 v17, v[0:3]
	s_waitcnt vmcnt(0) lgkmcnt(0)
	s_barrier
	buffer_gl0_inv
	s_cbranch_vccz .LBB119_24
; %bb.15:
	s_mov_b32 s0, exec_lo
	v_cmpx_gt_u32_e32 4, v18
	s_cbranch_execz .LBB119_17
; %bb.16:
	ds_load_b128 v[4:7], v17 offset:64
	ds_load_b128 v[19:22], v17
	s_waitcnt lgkmcnt(0)
	v_add_f64 v[4:5], v[4:5], v[19:20]
	v_add_f64 v[6:7], v[6:7], v[21:22]
	ds_store_b128 v17, v[4:7]
.LBB119_17:
	s_or_b32 exec_lo, exec_lo, s0
	s_delay_alu instid0(SALU_CYCLE_1)
	s_mov_b32 s0, exec_lo
	s_waitcnt lgkmcnt(0)
	s_barrier
	buffer_gl0_inv
	v_cmpx_gt_u32_e32 2, v18
	s_cbranch_execz .LBB119_19
; %bb.18:
	ds_load_b128 v[4:7], v17
	ds_load_b128 v[19:22], v17 offset:32
	s_waitcnt lgkmcnt(0)
	v_add_f64 v[4:5], v[19:20], v[4:5]
	v_add_f64 v[6:7], v[21:22], v[6:7]
	ds_store_b128 v17, v[4:7]
.LBB119_19:
	s_or_b32 exec_lo, exec_lo, s0
	s_delay_alu instid0(SALU_CYCLE_1)
	s_mov_b32 s0, exec_lo
	s_waitcnt lgkmcnt(0)
	s_barrier
	buffer_gl0_inv
	v_cmpx_eq_u32_e32 0, v18
	s_cbranch_execz .LBB119_21
; %bb.20:
	ds_load_b128 v[4:7], v17
	ds_load_b128 v[18:21], v17 offset:16
	s_waitcnt lgkmcnt(0)
	v_add_f64 v[4:5], v[18:19], v[4:5]
	v_add_f64 v[6:7], v[20:21], v[6:7]
	ds_store_b128 v17, v[4:7]
.LBB119_21:
	s_or_b32 exec_lo, exec_lo, s0
	v_dual_mov_b32 v7, v3 :: v_dual_mov_b32 v6, v2
	v_dual_mov_b32 v5, v1 :: v_dual_mov_b32 v4, v0
	s_mov_b32 s0, exec_lo
	s_waitcnt lgkmcnt(0)
	s_barrier
	buffer_gl0_inv
	v_cmpx_gt_u32_e32 14, v8
	s_cbranch_execz .LBB119_23
; %bb.22:
	v_mad_u32_u24 v4, 0x70, v8, v17
	ds_load_b128 v[4:7], v4
.LBB119_23:
	s_or_b32 exec_lo, exec_lo, s0
	s_branch .LBB119_34
.LBB119_24:
                                        ; implicit-def: $vgpr6_vgpr7
	s_cbranch_execz .LBB119_34
; %bb.25:
	s_mov_b32 s0, exec_lo
	v_cmpx_gt_u32_e32 56, v8
	s_cbranch_execz .LBB119_27
; %bb.26:
	s_waitcnt lgkmcnt(0)
	ds_load_b128 v[4:7], v17 offset:896
	ds_load_b128 v[18:21], v17
	s_waitcnt lgkmcnt(0)
	v_add_f64 v[4:5], v[4:5], v[18:19]
	v_add_f64 v[6:7], v[6:7], v[20:21]
	ds_store_b128 v17, v[4:7]
.LBB119_27:
	s_or_b32 exec_lo, exec_lo, s0
	s_delay_alu instid0(SALU_CYCLE_1)
	s_mov_b32 s0, exec_lo
	s_waitcnt lgkmcnt(0)
	s_barrier
	buffer_gl0_inv
	v_cmpx_gt_u32_e32 28, v8
	s_cbranch_execz .LBB119_29
; %bb.28:
	ds_load_b128 v[4:7], v17 offset:448
	ds_load_b128 v[18:21], v17
	s_waitcnt lgkmcnt(0)
	v_add_f64 v[4:5], v[4:5], v[18:19]
	v_add_f64 v[6:7], v[6:7], v[20:21]
	ds_store_b128 v17, v[4:7]
.LBB119_29:
	s_or_b32 exec_lo, exec_lo, s0
	s_delay_alu instid0(SALU_CYCLE_1)
	s_mov_b32 s0, exec_lo
	s_waitcnt lgkmcnt(0)
	buffer_gl0_inv
	v_cmpx_lt_u32_e32 13, v8
	s_xor_b32 s0, exec_lo, s0
	s_cbranch_execz .LBB119_31
; %bb.30:
	buffer_gl0_inv
                                        ; implicit-def: $vgpr17
.LBB119_31:
	s_and_not1_saveexec_b32 s0, s0
	s_cbranch_execz .LBB119_33
; %bb.32:
	ds_load_b128 v[0:3], v17 offset:224
	ds_load_b128 v[4:7], v17
	s_waitcnt lgkmcnt(0)
	v_add_f64 v[0:1], v[0:1], v[4:5]
	v_add_f64 v[2:3], v[2:3], v[6:7]
	ds_store_b128 v17, v[0:3]
	s_waitcnt lgkmcnt(0)
	buffer_gl0_inv
	ds_load_b128 v[0:3], v17
.LBB119_33:
	s_or_b32 exec_lo, exec_lo, s0
	s_waitcnt lgkmcnt(0)
	v_dual_mov_b32 v7, v3 :: v_dual_mov_b32 v6, v2
	v_dual_mov_b32 v5, v1 :: v_dual_mov_b32 v4, v0
.LBB119_34:
	v_cmp_gt_u32_e32 vcc_lo, 14, v8
	s_and_b32 exec_lo, exec_lo, vcc_lo
	s_cbranch_execz .LBB119_39
; %bb.35:
	s_waitcnt lgkmcnt(0)
	v_mul_f64 v[0:1], v[6:7], -v[15:16]
	v_mul_f64 v[2:3], v[13:14], v[6:7]
	v_cmp_eq_f64_e32 vcc_lo, 0, v[9:10]
	v_cmp_eq_f64_e64 s0, 0, v[11:12]
	s_delay_alu instid0(VALU_DEP_4) | instskip(NEXT) | instid1(VALU_DEP_4)
	v_fma_f64 v[0:1], v[13:14], v[4:5], v[0:1]
	v_fma_f64 v[2:3], v[15:16], v[4:5], v[2:3]
	s_delay_alu instid0(VALU_DEP_3) | instskip(NEXT) | instid1(SALU_CYCLE_1)
	s_and_b32 s0, vcc_lo, s0
	s_and_saveexec_b32 s1, s0
	s_delay_alu instid0(SALU_CYCLE_1)
	s_xor_b32 s0, exec_lo, s1
	s_cbranch_execz .LBB119_37
; %bb.36:
	v_mad_u64_u32 v[4:5], null, s12, 14, v[8:9]
	v_mov_b32_e32 v5, 0
                                        ; implicit-def: $vgpr8
                                        ; implicit-def: $vgpr9_vgpr10
                                        ; implicit-def: $vgpr11_vgpr12
	s_delay_alu instid0(VALU_DEP_1) | instskip(NEXT) | instid1(VALU_DEP_1)
	v_lshlrev_b64 v[4:5], 4, v[4:5]
	v_add_co_u32 v4, vcc_lo, s8, v4
	s_delay_alu instid0(VALU_DEP_2)
	v_add_co_ci_u32_e32 v5, vcc_lo, s9, v5, vcc_lo
	global_store_b128 v[4:5], v[0:3], off
                                        ; implicit-def: $vgpr0_vgpr1
.LBB119_37:
	s_and_not1_saveexec_b32 s0, s0
	s_cbranch_execz .LBB119_39
; %bb.38:
	v_mad_u64_u32 v[4:5], null, s12, 14, v[8:9]
	v_mov_b32_e32 v5, 0
	s_delay_alu instid0(VALU_DEP_1) | instskip(NEXT) | instid1(VALU_DEP_1)
	v_lshlrev_b64 v[4:5], 4, v[4:5]
	v_add_co_u32 v13, vcc_lo, s8, v4
	s_delay_alu instid0(VALU_DEP_2) | instskip(SKIP_4) | instid1(VALU_DEP_2)
	v_add_co_ci_u32_e32 v14, vcc_lo, s9, v5, vcc_lo
	global_load_b128 v[4:7], v[13:14], off
	s_waitcnt vmcnt(0)
	v_fma_f64 v[0:1], v[9:10], v[4:5], v[0:1]
	v_fma_f64 v[2:3], v[11:12], v[4:5], v[2:3]
	v_fma_f64 v[0:1], -v[11:12], v[6:7], v[0:1]
	s_delay_alu instid0(VALU_DEP_2)
	v_fma_f64 v[2:3], v[9:10], v[6:7], v[2:3]
	global_store_b128 v[13:14], v[0:3], off
.LBB119_39:
	s_nop 0
	s_sendmsg sendmsg(MSG_DEALLOC_VGPRS)
	s_endpgm
	.section	.rodata,"a",@progbits
	.p2align	6, 0x0
	.amdhsa_kernel _ZN9rocsparseL22gebsrmvn_mxn_16_kernelILj112ELj14ELj8E21rocsparse_complex_numIdEEEvi20rocsparse_direction_NS_24const_host_device_scalarIT2_EEPKiS8_PKS5_iiSA_S6_PS5_21rocsparse_index_base_b
		.amdhsa_group_segment_fixed_size 3584
		.amdhsa_private_segment_fixed_size 0
		.amdhsa_kernarg_size 96
		.amdhsa_user_sgpr_count 15
		.amdhsa_user_sgpr_dispatch_ptr 1
		.amdhsa_user_sgpr_queue_ptr 0
		.amdhsa_user_sgpr_kernarg_segment_ptr 1
		.amdhsa_user_sgpr_dispatch_id 0
		.amdhsa_user_sgpr_private_segment_size 0
		.amdhsa_wavefront_size32 1
		.amdhsa_uses_dynamic_stack 0
		.amdhsa_enable_private_segment 0
		.amdhsa_system_sgpr_workgroup_id_x 1
		.amdhsa_system_sgpr_workgroup_id_y 0
		.amdhsa_system_sgpr_workgroup_id_z 0
		.amdhsa_system_sgpr_workgroup_info 0
		.amdhsa_system_vgpr_workitem_id 2
		.amdhsa_next_free_vgpr 28
		.amdhsa_next_free_sgpr 18
		.amdhsa_reserve_vcc 1
		.amdhsa_float_round_mode_32 0
		.amdhsa_float_round_mode_16_64 0
		.amdhsa_float_denorm_mode_32 3
		.amdhsa_float_denorm_mode_16_64 3
		.amdhsa_dx10_clamp 1
		.amdhsa_ieee_mode 1
		.amdhsa_fp16_overflow 0
		.amdhsa_workgroup_processor_mode 1
		.amdhsa_memory_ordered 1
		.amdhsa_forward_progress 0
		.amdhsa_shared_vgpr_count 0
		.amdhsa_exception_fp_ieee_invalid_op 0
		.amdhsa_exception_fp_denorm_src 0
		.amdhsa_exception_fp_ieee_div_zero 0
		.amdhsa_exception_fp_ieee_overflow 0
		.amdhsa_exception_fp_ieee_underflow 0
		.amdhsa_exception_fp_ieee_inexact 0
		.amdhsa_exception_int_div_zero 0
	.end_amdhsa_kernel
	.section	.text._ZN9rocsparseL22gebsrmvn_mxn_16_kernelILj112ELj14ELj8E21rocsparse_complex_numIdEEEvi20rocsparse_direction_NS_24const_host_device_scalarIT2_EEPKiS8_PKS5_iiSA_S6_PS5_21rocsparse_index_base_b,"axG",@progbits,_ZN9rocsparseL22gebsrmvn_mxn_16_kernelILj112ELj14ELj8E21rocsparse_complex_numIdEEEvi20rocsparse_direction_NS_24const_host_device_scalarIT2_EEPKiS8_PKS5_iiSA_S6_PS5_21rocsparse_index_base_b,comdat
.Lfunc_end119:
	.size	_ZN9rocsparseL22gebsrmvn_mxn_16_kernelILj112ELj14ELj8E21rocsparse_complex_numIdEEEvi20rocsparse_direction_NS_24const_host_device_scalarIT2_EEPKiS8_PKS5_iiSA_S6_PS5_21rocsparse_index_base_b, .Lfunc_end119-_ZN9rocsparseL22gebsrmvn_mxn_16_kernelILj112ELj14ELj8E21rocsparse_complex_numIdEEEvi20rocsparse_direction_NS_24const_host_device_scalarIT2_EEPKiS8_PKS5_iiSA_S6_PS5_21rocsparse_index_base_b
                                        ; -- End function
	.section	.AMDGPU.csdata,"",@progbits
; Kernel info:
; codeLenInByte = 1680
; NumSgprs: 20
; NumVgprs: 28
; ScratchSize: 0
; MemoryBound: 0
; FloatMode: 240
; IeeeMode: 1
; LDSByteSize: 3584 bytes/workgroup (compile time only)
; SGPRBlocks: 2
; VGPRBlocks: 3
; NumSGPRsForWavesPerEU: 20
; NumVGPRsForWavesPerEU: 28
; Occupancy: 16
; WaveLimiterHint : 1
; COMPUTE_PGM_RSRC2:SCRATCH_EN: 0
; COMPUTE_PGM_RSRC2:USER_SGPR: 15
; COMPUTE_PGM_RSRC2:TRAP_HANDLER: 0
; COMPUTE_PGM_RSRC2:TGID_X_EN: 1
; COMPUTE_PGM_RSRC2:TGID_Y_EN: 0
; COMPUTE_PGM_RSRC2:TGID_Z_EN: 0
; COMPUTE_PGM_RSRC2:TIDIG_COMP_CNT: 2
	.section	.text._ZN9rocsparseL22gebsrmvn_mxn_16_kernelILj60ELj15ELj1E21rocsparse_complex_numIdEEEvi20rocsparse_direction_NS_24const_host_device_scalarIT2_EEPKiS8_PKS5_iiSA_S6_PS5_21rocsparse_index_base_b,"axG",@progbits,_ZN9rocsparseL22gebsrmvn_mxn_16_kernelILj60ELj15ELj1E21rocsparse_complex_numIdEEEvi20rocsparse_direction_NS_24const_host_device_scalarIT2_EEPKiS8_PKS5_iiSA_S6_PS5_21rocsparse_index_base_b,comdat
	.globl	_ZN9rocsparseL22gebsrmvn_mxn_16_kernelILj60ELj15ELj1E21rocsparse_complex_numIdEEEvi20rocsparse_direction_NS_24const_host_device_scalarIT2_EEPKiS8_PKS5_iiSA_S6_PS5_21rocsparse_index_base_b ; -- Begin function _ZN9rocsparseL22gebsrmvn_mxn_16_kernelILj60ELj15ELj1E21rocsparse_complex_numIdEEEvi20rocsparse_direction_NS_24const_host_device_scalarIT2_EEPKiS8_PKS5_iiSA_S6_PS5_21rocsparse_index_base_b
	.p2align	8
	.type	_ZN9rocsparseL22gebsrmvn_mxn_16_kernelILj60ELj15ELj1E21rocsparse_complex_numIdEEEvi20rocsparse_direction_NS_24const_host_device_scalarIT2_EEPKiS8_PKS5_iiSA_S6_PS5_21rocsparse_index_base_b,@function
_ZN9rocsparseL22gebsrmvn_mxn_16_kernelILj60ELj15ELj1E21rocsparse_complex_numIdEEEvi20rocsparse_direction_NS_24const_host_device_scalarIT2_EEPKiS8_PKS5_iiSA_S6_PS5_21rocsparse_index_base_b: ; @_ZN9rocsparseL22gebsrmvn_mxn_16_kernelILj60ELj15ELj1E21rocsparse_complex_numIdEEEvi20rocsparse_direction_NS_24const_host_device_scalarIT2_EEPKiS8_PKS5_iiSA_S6_PS5_21rocsparse_index_base_b
; %bb.0:
	s_mov_b32 s12, s15
	s_load_b64 s[14:15], s[2:3], 0x58
	s_load_b64 s[16:17], s[0:1], 0x4
	s_load_b128 s[8:11], s[2:3], 0x8
	v_bfe_u32 v1, v0, 10, 10
	s_mov_b64 s[0:1], src_shared_base
	s_load_b128 s[4:7], s[2:3], 0x40
	v_and_b32_e32 v6, 0x3ff, v0
	v_bfe_u32 v0, v0, 20, 10
	s_waitcnt lgkmcnt(0)
	s_bitcmp1_b32 s15, 0
	v_mul_u32_u24_e32 v1, s17, v1
	s_cselect_b32 s0, -1, 0
	v_mov_b32_e32 v12, s11
	s_and_b32 vcc_lo, s0, exec_lo
	s_cselect_b32 s13, s1, s9
	s_lshr_b32 s15, s16, 16
	v_dual_mov_b32 v2, s4 :: v_dual_mov_b32 v11, s10
	s_mul_i32 s15, s15, s17
	s_xor_b32 s10, s0, -1
	v_mad_u32_u24 v1, s15, v6, v1
	v_mov_b32_e32 v5, s13
	v_mov_b32_e32 v3, s5
	s_delay_alu instid0(VALU_DEP_3) | instskip(SKIP_1) | instid1(VALU_DEP_2)
	v_add_lshl_u32 v7, v1, v0, 3
	v_dual_mov_b32 v0, s8 :: v_dual_mov_b32 v1, s9
	v_add_nc_u32_e32 v4, 0x5a0, v7
	ds_store_2addr_b64 v7, v[2:3], v[0:1] offset0:120 offset1:180
	v_add_nc_u32_e32 v0, 0x3c0, v7
	v_cndmask_b32_e64 v4, s8, v4, s0
	flat_load_b64 v[4:5], v[4:5]
	s_cbranch_vccnz .LBB120_2
; %bb.1:
	v_dual_mov_b32 v1, s8 :: v_dual_mov_b32 v2, s9
	flat_load_b64 v[11:12], v[1:2] offset:8
.LBB120_2:
	s_and_b32 s8, s0, exec_lo
	s_cselect_b32 s1, s1, s5
	v_cndmask_b32_e64 v0, s4, v0, s0
	v_dual_mov_b32 v1, s1 :: v_dual_mov_b32 v10, s7
	v_mov_b32_e32 v9, s6
	s_and_not1_b32 vcc_lo, exec_lo, s10
	flat_load_b64 v[7:8], v[0:1]
	s_cbranch_vccnz .LBB120_4
; %bb.3:
	v_dual_mov_b32 v0, s4 :: v_dual_mov_b32 v1, s5
	flat_load_b64 v[9:10], v[0:1] offset:8
.LBB120_4:
	s_waitcnt vmcnt(1) lgkmcnt(1)
	v_cmp_eq_f64_e32 vcc_lo, 0, v[4:5]
	v_cmp_eq_f64_e64 s0, 0, v[11:12]
	s_delay_alu instid0(VALU_DEP_1)
	s_and_b32 s4, vcc_lo, s0
	s_mov_b32 s0, -1
	s_and_saveexec_b32 s1, s4
	s_cbranch_execz .LBB120_6
; %bb.5:
	s_waitcnt vmcnt(0) lgkmcnt(0)
	v_cmp_neq_f64_e32 vcc_lo, 1.0, v[7:8]
	v_cmp_neq_f64_e64 s0, 0, v[9:10]
	s_delay_alu instid0(VALU_DEP_1) | instskip(NEXT) | instid1(SALU_CYCLE_1)
	s_or_b32 s0, vcc_lo, s0
	s_or_not1_b32 s0, s0, exec_lo
.LBB120_6:
	s_or_b32 exec_lo, exec_lo, s1
	s_and_saveexec_b32 s1, s0
	s_cbranch_execz .LBB120_23
; %bb.7:
	s_load_b64 s[0:1], s[2:3], 0x18
	s_ashr_i32 s13, s12, 31
	v_mov_b32_e32 v2, 0
	s_lshl_b64 s[4:5], s[12:13], 2
	v_mov_b32_e32 v3, 0
	s_delay_alu instid0(VALU_DEP_1)
	v_dual_mov_b32 v0, v2 :: v_dual_mov_b32 v1, v3
	s_waitcnt lgkmcnt(0)
	s_add_u32 s0, s0, s4
	s_addc_u32 s1, s1, s5
	s_load_b64 s[10:11], s[0:1], 0x0
	s_load_b64 s[8:9], s[2:3], 0x50
	s_waitcnt lgkmcnt(0)
	s_cmp_ge_i32 s10, s11
	s_cbranch_scc1 .LBB120_12
; %bb.8:
	s_clause 0x1
	s_load_b128 s[4:7], s[2:3], 0x20
	s_load_b64 s[0:1], s[2:3], 0x38
	s_waitcnt vmcnt(0)
	v_mad_u64_u32 v[0:1], null, s10, 15, v[6:7]
	v_mov_b32_e32 v2, 0
	v_mul_u32_u24_e32 v1, 0x1112, v6
	v_dual_mov_b32 v3, 0 :: v_dual_mov_b32 v14, 0
	s_mul_i32 s2, s14, 15
	s_sub_i32 s3, s10, s14
	s_delay_alu instid0(VALU_DEP_2)
	v_lshrrev_b32_e32 v17, 16, v1
	v_subrev_nc_u32_e32 v13, s2, v0
	v_dual_mov_b32 v0, v2 :: v_dual_mov_b32 v1, v3
	s_sub_i32 s2, s11, s14
	s_set_inst_prefetch_distance 0x1
	s_branch .LBB120_10
	.p2align	6
.LBB120_9:                              ;   in Loop: Header=BB120_10 Depth=1
	s_or_b32 exec_lo, exec_lo, s10
	v_add_nc_u32_e32 v13, 60, v13
	s_add_i32 s3, s3, 4
	s_delay_alu instid0(SALU_CYCLE_1)
	s_cmp_ge_i32 s3, s2
	s_cbranch_scc1 .LBB120_12
.LBB120_10:                             ; =>This Inner Loop Header: Depth=1
	v_add_nc_u32_e32 v15, s3, v17
	s_mov_b32 s10, exec_lo
	s_delay_alu instid0(VALU_DEP_1)
	v_cmpx_gt_i32_e64 s2, v15
	s_cbranch_execz .LBB120_9
; %bb.11:                               ;   in Loop: Header=BB120_10 Depth=1
	v_ashrrev_i32_e32 v16, 31, v15
	v_lshlrev_b64 v[18:19], 4, v[13:14]
	s_delay_alu instid0(VALU_DEP_2) | instskip(SKIP_1) | instid1(VALU_DEP_1)
	v_lshlrev_b64 v[15:16], 2, v[15:16]
	s_waitcnt lgkmcnt(0)
	v_add_co_u32 v15, vcc_lo, s4, v15
	s_delay_alu instid0(VALU_DEP_2) | instskip(NEXT) | instid1(VALU_DEP_4)
	v_add_co_ci_u32_e32 v16, vcc_lo, s5, v16, vcc_lo
	v_add_co_u32 v18, vcc_lo, s6, v18
	v_add_co_ci_u32_e32 v19, vcc_lo, s7, v19, vcc_lo
	global_load_b32 v15, v[15:16], off
	s_waitcnt vmcnt(0)
	v_subrev_nc_u32_e32 v15, s14, v15
	s_delay_alu instid0(VALU_DEP_1) | instskip(NEXT) | instid1(VALU_DEP_1)
	v_ashrrev_i32_e32 v16, 31, v15
	v_lshlrev_b64 v[15:16], 4, v[15:16]
	s_delay_alu instid0(VALU_DEP_1) | instskip(NEXT) | instid1(VALU_DEP_2)
	v_add_co_u32 v15, vcc_lo, s0, v15
	v_add_co_ci_u32_e32 v16, vcc_lo, s1, v16, vcc_lo
	global_load_b128 v[18:21], v[18:19], off
	global_load_b128 v[22:25], v[15:16], off
	s_waitcnt vmcnt(0)
	v_fma_f64 v[0:1], v[18:19], v[22:23], v[0:1]
	v_fma_f64 v[2:3], v[20:21], v[22:23], v[2:3]
	s_delay_alu instid0(VALU_DEP_2) | instskip(NEXT) | instid1(VALU_DEP_2)
	v_fma_f64 v[0:1], -v[20:21], v[24:25], v[0:1]
	v_fma_f64 v[2:3], v[18:19], v[24:25], v[2:3]
	s_branch .LBB120_9
.LBB120_12:
	s_set_inst_prefetch_distance 0x2
	v_lshlrev_b32_e32 v13, 4, v6
	s_waitcnt lgkmcnt(0)
	s_mov_b32 s0, exec_lo
	ds_store_b128 v13, v[0:3]
	s_waitcnt vmcnt(0) lgkmcnt(0)
	s_barrier
	buffer_gl0_inv
	v_cmpx_gt_u32_e32 30, v6
	s_cbranch_execz .LBB120_14
; %bb.13:
	ds_load_b128 v[14:17], v13 offset:480
	ds_load_b128 v[18:21], v13
	s_waitcnt lgkmcnt(0)
	v_add_f64 v[14:15], v[14:15], v[18:19]
	v_add_f64 v[16:17], v[16:17], v[20:21]
	ds_store_b128 v13, v[14:17]
.LBB120_14:
	s_or_b32 exec_lo, exec_lo, s0
	v_cmp_gt_u32_e32 vcc_lo, 15, v6
	s_waitcnt lgkmcnt(0)
	s_barrier
	buffer_gl0_inv
	s_and_saveexec_b32 s0, vcc_lo
	s_cbranch_execz .LBB120_16
; %bb.15:
	ds_load_b128 v[14:17], v13 offset:240
	ds_load_b128 v[18:21], v13
	s_waitcnt lgkmcnt(0)
	v_add_f64 v[14:15], v[14:15], v[18:19]
	v_add_f64 v[16:17], v[16:17], v[20:21]
	ds_store_b128 v13, v[14:17]
.LBB120_16:
	s_or_b32 exec_lo, exec_lo, s0
	s_waitcnt lgkmcnt(0)
	s_barrier
	buffer_gl0_inv
	s_and_saveexec_b32 s0, vcc_lo
	s_cbranch_execz .LBB120_18
; %bb.17:
	ds_load_b128 v[0:3], v13
.LBB120_18:
	s_or_b32 exec_lo, exec_lo, s0
	s_delay_alu instid0(SALU_CYCLE_1)
	s_and_b32 exec_lo, exec_lo, vcc_lo
	s_cbranch_execz .LBB120_23
; %bb.19:
	s_waitcnt lgkmcnt(0)
	v_mul_f64 v[13:14], v[2:3], -v[11:12]
	v_mul_f64 v[15:16], v[4:5], v[2:3]
	v_cmp_eq_f64_e32 vcc_lo, 0, v[7:8]
	v_cmp_eq_f64_e64 s0, 0, v[9:10]
	s_delay_alu instid0(VALU_DEP_4) | instskip(NEXT) | instid1(VALU_DEP_4)
	v_fma_f64 v[2:3], v[4:5], v[0:1], v[13:14]
	v_fma_f64 v[4:5], v[11:12], v[0:1], v[15:16]
	s_delay_alu instid0(VALU_DEP_3) | instskip(NEXT) | instid1(SALU_CYCLE_1)
	s_and_b32 s0, vcc_lo, s0
	s_and_saveexec_b32 s1, s0
	s_delay_alu instid0(SALU_CYCLE_1)
	s_xor_b32 s0, exec_lo, s1
	s_cbranch_execz .LBB120_21
; %bb.20:
	v_mad_u64_u32 v[0:1], null, s12, 15, v[6:7]
	v_mov_b32_e32 v1, 0
                                        ; implicit-def: $vgpr6
                                        ; implicit-def: $vgpr7_vgpr8
                                        ; implicit-def: $vgpr9_vgpr10
	s_delay_alu instid0(VALU_DEP_1) | instskip(NEXT) | instid1(VALU_DEP_1)
	v_lshlrev_b64 v[0:1], 4, v[0:1]
	v_add_co_u32 v0, vcc_lo, s8, v0
	s_delay_alu instid0(VALU_DEP_2)
	v_add_co_ci_u32_e32 v1, vcc_lo, s9, v1, vcc_lo
	global_store_b128 v[0:1], v[2:5], off
                                        ; implicit-def: $vgpr2_vgpr3
.LBB120_21:
	s_and_not1_saveexec_b32 s0, s0
	s_cbranch_execz .LBB120_23
; %bb.22:
	v_mad_u64_u32 v[0:1], null, s12, 15, v[6:7]
	v_mov_b32_e32 v1, 0
	s_delay_alu instid0(VALU_DEP_1) | instskip(NEXT) | instid1(VALU_DEP_1)
	v_lshlrev_b64 v[0:1], 4, v[0:1]
	v_add_co_u32 v15, vcc_lo, s8, v0
	s_delay_alu instid0(VALU_DEP_2) | instskip(SKIP_4) | instid1(VALU_DEP_2)
	v_add_co_ci_u32_e32 v16, vcc_lo, s9, v1, vcc_lo
	global_load_b128 v[11:14], v[15:16], off
	s_waitcnt vmcnt(0)
	v_fma_f64 v[0:1], v[7:8], v[11:12], v[2:3]
	v_fma_f64 v[2:3], v[9:10], v[11:12], v[4:5]
	v_fma_f64 v[0:1], -v[9:10], v[13:14], v[0:1]
	s_delay_alu instid0(VALU_DEP_2)
	v_fma_f64 v[2:3], v[7:8], v[13:14], v[2:3]
	global_store_b128 v[15:16], v[0:3], off
.LBB120_23:
	s_nop 0
	s_sendmsg sendmsg(MSG_DEALLOC_VGPRS)
	s_endpgm
	.section	.rodata,"a",@progbits
	.p2align	6, 0x0
	.amdhsa_kernel _ZN9rocsparseL22gebsrmvn_mxn_16_kernelILj60ELj15ELj1E21rocsparse_complex_numIdEEEvi20rocsparse_direction_NS_24const_host_device_scalarIT2_EEPKiS8_PKS5_iiSA_S6_PS5_21rocsparse_index_base_b
		.amdhsa_group_segment_fixed_size 1920
		.amdhsa_private_segment_fixed_size 0
		.amdhsa_kernarg_size 96
		.amdhsa_user_sgpr_count 15
		.amdhsa_user_sgpr_dispatch_ptr 1
		.amdhsa_user_sgpr_queue_ptr 0
		.amdhsa_user_sgpr_kernarg_segment_ptr 1
		.amdhsa_user_sgpr_dispatch_id 0
		.amdhsa_user_sgpr_private_segment_size 0
		.amdhsa_wavefront_size32 1
		.amdhsa_uses_dynamic_stack 0
		.amdhsa_enable_private_segment 0
		.amdhsa_system_sgpr_workgroup_id_x 1
		.amdhsa_system_sgpr_workgroup_id_y 0
		.amdhsa_system_sgpr_workgroup_id_z 0
		.amdhsa_system_sgpr_workgroup_info 0
		.amdhsa_system_vgpr_workitem_id 2
		.amdhsa_next_free_vgpr 26
		.amdhsa_next_free_sgpr 18
		.amdhsa_reserve_vcc 1
		.amdhsa_float_round_mode_32 0
		.amdhsa_float_round_mode_16_64 0
		.amdhsa_float_denorm_mode_32 3
		.amdhsa_float_denorm_mode_16_64 3
		.amdhsa_dx10_clamp 1
		.amdhsa_ieee_mode 1
		.amdhsa_fp16_overflow 0
		.amdhsa_workgroup_processor_mode 1
		.amdhsa_memory_ordered 1
		.amdhsa_forward_progress 0
		.amdhsa_shared_vgpr_count 0
		.amdhsa_exception_fp_ieee_invalid_op 0
		.amdhsa_exception_fp_denorm_src 0
		.amdhsa_exception_fp_ieee_div_zero 0
		.amdhsa_exception_fp_ieee_overflow 0
		.amdhsa_exception_fp_ieee_underflow 0
		.amdhsa_exception_fp_ieee_inexact 0
		.amdhsa_exception_int_div_zero 0
	.end_amdhsa_kernel
	.section	.text._ZN9rocsparseL22gebsrmvn_mxn_16_kernelILj60ELj15ELj1E21rocsparse_complex_numIdEEEvi20rocsparse_direction_NS_24const_host_device_scalarIT2_EEPKiS8_PKS5_iiSA_S6_PS5_21rocsparse_index_base_b,"axG",@progbits,_ZN9rocsparseL22gebsrmvn_mxn_16_kernelILj60ELj15ELj1E21rocsparse_complex_numIdEEEvi20rocsparse_direction_NS_24const_host_device_scalarIT2_EEPKiS8_PKS5_iiSA_S6_PS5_21rocsparse_index_base_b,comdat
.Lfunc_end120:
	.size	_ZN9rocsparseL22gebsrmvn_mxn_16_kernelILj60ELj15ELj1E21rocsparse_complex_numIdEEEvi20rocsparse_direction_NS_24const_host_device_scalarIT2_EEPKiS8_PKS5_iiSA_S6_PS5_21rocsparse_index_base_b, .Lfunc_end120-_ZN9rocsparseL22gebsrmvn_mxn_16_kernelILj60ELj15ELj1E21rocsparse_complex_numIdEEEvi20rocsparse_direction_NS_24const_host_device_scalarIT2_EEPKiS8_PKS5_iiSA_S6_PS5_21rocsparse_index_base_b
                                        ; -- End function
	.section	.AMDGPU.csdata,"",@progbits
; Kernel info:
; codeLenInByte = 1184
; NumSgprs: 20
; NumVgprs: 26
; ScratchSize: 0
; MemoryBound: 0
; FloatMode: 240
; IeeeMode: 1
; LDSByteSize: 1920 bytes/workgroup (compile time only)
; SGPRBlocks: 2
; VGPRBlocks: 3
; NumSGPRsForWavesPerEU: 20
; NumVGPRsForWavesPerEU: 26
; Occupancy: 16
; WaveLimiterHint : 1
; COMPUTE_PGM_RSRC2:SCRATCH_EN: 0
; COMPUTE_PGM_RSRC2:USER_SGPR: 15
; COMPUTE_PGM_RSRC2:TRAP_HANDLER: 0
; COMPUTE_PGM_RSRC2:TGID_X_EN: 1
; COMPUTE_PGM_RSRC2:TGID_Y_EN: 0
; COMPUTE_PGM_RSRC2:TGID_Z_EN: 0
; COMPUTE_PGM_RSRC2:TIDIG_COMP_CNT: 2
	.section	.text._ZN9rocsparseL22gebsrmvn_mxn_16_kernelILj60ELj15ELj2E21rocsparse_complex_numIdEEEvi20rocsparse_direction_NS_24const_host_device_scalarIT2_EEPKiS8_PKS5_iiSA_S6_PS5_21rocsparse_index_base_b,"axG",@progbits,_ZN9rocsparseL22gebsrmvn_mxn_16_kernelILj60ELj15ELj2E21rocsparse_complex_numIdEEEvi20rocsparse_direction_NS_24const_host_device_scalarIT2_EEPKiS8_PKS5_iiSA_S6_PS5_21rocsparse_index_base_b,comdat
	.globl	_ZN9rocsparseL22gebsrmvn_mxn_16_kernelILj60ELj15ELj2E21rocsparse_complex_numIdEEEvi20rocsparse_direction_NS_24const_host_device_scalarIT2_EEPKiS8_PKS5_iiSA_S6_PS5_21rocsparse_index_base_b ; -- Begin function _ZN9rocsparseL22gebsrmvn_mxn_16_kernelILj60ELj15ELj2E21rocsparse_complex_numIdEEEvi20rocsparse_direction_NS_24const_host_device_scalarIT2_EEPKiS8_PKS5_iiSA_S6_PS5_21rocsparse_index_base_b
	.p2align	8
	.type	_ZN9rocsparseL22gebsrmvn_mxn_16_kernelILj60ELj15ELj2E21rocsparse_complex_numIdEEEvi20rocsparse_direction_NS_24const_host_device_scalarIT2_EEPKiS8_PKS5_iiSA_S6_PS5_21rocsparse_index_base_b,@function
_ZN9rocsparseL22gebsrmvn_mxn_16_kernelILj60ELj15ELj2E21rocsparse_complex_numIdEEEvi20rocsparse_direction_NS_24const_host_device_scalarIT2_EEPKiS8_PKS5_iiSA_S6_PS5_21rocsparse_index_base_b: ; @_ZN9rocsparseL22gebsrmvn_mxn_16_kernelILj60ELj15ELj2E21rocsparse_complex_numIdEEEvi20rocsparse_direction_NS_24const_host_device_scalarIT2_EEPKiS8_PKS5_iiSA_S6_PS5_21rocsparse_index_base_b
; %bb.0:
	s_mov_b32 s12, s15
	s_load_b64 s[14:15], s[2:3], 0x58
	s_load_b64 s[16:17], s[0:1], 0x4
	s_load_b128 s[8:11], s[2:3], 0x8
	v_bfe_u32 v1, v0, 10, 10
	s_mov_b64 s[0:1], src_shared_base
	s_load_b128 s[4:7], s[2:3], 0x40
	v_and_b32_e32 v8, 0x3ff, v0
	v_bfe_u32 v0, v0, 20, 10
	s_waitcnt lgkmcnt(0)
	s_bitcmp1_b32 s15, 0
	v_mul_u32_u24_e32 v1, s17, v1
	s_cselect_b32 s0, -1, 0
	v_mov_b32_e32 v16, s11
	s_and_b32 vcc_lo, s0, exec_lo
	s_cselect_b32 s13, s1, s9
	s_lshr_b32 s15, s16, 16
	v_dual_mov_b32 v2, s4 :: v_dual_mov_b32 v15, s10
	s_mul_i32 s15, s15, s17
	s_xor_b32 s10, s0, -1
	v_mad_u32_u24 v1, s15, v8, v1
	v_mov_b32_e32 v5, s13
	v_mov_b32_e32 v3, s5
	s_delay_alu instid0(VALU_DEP_3) | instskip(SKIP_1) | instid1(VALU_DEP_2)
	v_add_lshl_u32 v6, v1, v0, 3
	v_dual_mov_b32 v0, s8 :: v_dual_mov_b32 v1, s9
	v_add_nc_u32_e32 v4, 0x5a0, v6
	ds_store_2addr_b64 v6, v[2:3], v[0:1] offset0:120 offset1:180
	v_add_nc_u32_e32 v0, 0x3c0, v6
	v_cndmask_b32_e64 v4, s8, v4, s0
	flat_load_b64 v[13:14], v[4:5]
	s_cbranch_vccnz .LBB121_2
; %bb.1:
	v_dual_mov_b32 v1, s8 :: v_dual_mov_b32 v2, s9
	flat_load_b64 v[15:16], v[1:2] offset:8
.LBB121_2:
	s_and_b32 s8, s0, exec_lo
	s_cselect_b32 s1, s1, s5
	v_cndmask_b32_e64 v0, s4, v0, s0
	v_dual_mov_b32 v1, s1 :: v_dual_mov_b32 v12, s7
	v_mov_b32_e32 v11, s6
	s_and_not1_b32 vcc_lo, exec_lo, s10
	flat_load_b64 v[9:10], v[0:1]
	s_cbranch_vccnz .LBB121_4
; %bb.3:
	v_dual_mov_b32 v0, s4 :: v_dual_mov_b32 v1, s5
	flat_load_b64 v[11:12], v[0:1] offset:8
.LBB121_4:
	s_waitcnt vmcnt(1) lgkmcnt(1)
	v_cmp_eq_f64_e32 vcc_lo, 0, v[13:14]
	v_cmp_eq_f64_e64 s0, 0, v[15:16]
	s_delay_alu instid0(VALU_DEP_1)
	s_and_b32 s4, vcc_lo, s0
	s_mov_b32 s0, -1
	s_and_saveexec_b32 s1, s4
	s_cbranch_execz .LBB121_6
; %bb.5:
	s_waitcnt vmcnt(0) lgkmcnt(0)
	v_cmp_neq_f64_e32 vcc_lo, 1.0, v[9:10]
	v_cmp_neq_f64_e64 s0, 0, v[11:12]
	s_delay_alu instid0(VALU_DEP_1) | instskip(NEXT) | instid1(SALU_CYCLE_1)
	s_or_b32 s0, vcc_lo, s0
	s_or_not1_b32 s0, s0, exec_lo
.LBB121_6:
	s_or_b32 exec_lo, exec_lo, s1
	s_and_saveexec_b32 s1, s0
	s_cbranch_execz .LBB121_33
; %bb.7:
	s_clause 0x1
	s_load_b32 s4, s[2:3], 0x4
	s_load_b64 s[0:1], s[2:3], 0x18
	v_and_b32_e32 v17, 1, v8
	s_delay_alu instid0(VALU_DEP_1) | instskip(SKIP_3) | instid1(SALU_CYCLE_1)
	v_mov_b32_e32 v18, v17
	s_waitcnt lgkmcnt(0)
	s_cmp_lg_u32 s4, 1
	s_cselect_b32 s15, -1, 0
	s_and_b32 vcc_lo, exec_lo, s15
	s_cbranch_vccnz .LBB121_9
; %bb.8:
	v_mul_u32_u24_e32 v0, 0x1112, v8
	s_delay_alu instid0(VALU_DEP_1)
	v_bfe_u32 v18, v0, 16, 1
.LBB121_9:
	s_ashr_i32 s13, s12, 31
	v_mov_b32_e32 v2, 0
	s_lshl_b64 s[4:5], s[12:13], 2
	v_mov_b32_e32 v3, 0
	s_add_u32 s0, s0, s4
	s_addc_u32 s1, s1, s5
	v_mov_b32_e32 v0, v2
	s_load_b64 s[10:11], s[0:1], 0x0
	s_load_b64 s[8:9], s[2:3], 0x50
	v_mov_b32_e32 v1, v3
	s_waitcnt lgkmcnt(0)
	s_cmp_ge_i32 s10, s11
	s_cbranch_scc1 .LBB121_14
; %bb.10:
	s_clause 0x1
	s_load_b128 s[4:7], s[2:3], 0x20
	s_load_b64 s[0:1], s[2:3], 0x38
	s_waitcnt vmcnt(0)
	v_mad_u64_u32 v[0:1], null, s10, 30, v[8:9]
	v_dual_mov_b32 v2, 0 :: v_dual_mov_b32 v5, 0
	v_mul_u32_u24_e32 v1, 0x889, v8
	v_mov_b32_e32 v3, 0
	s_mul_i32 s2, s14, 30
	s_sub_i32 s3, s10, s14
	s_delay_alu instid0(VALU_DEP_4)
	v_subrev_nc_u32_e32 v4, s2, v0
	v_lshrrev_b32_e32 v19, 16, v1
	v_dual_mov_b32 v0, v2 :: v_dual_mov_b32 v1, v3
	s_sub_i32 s2, s11, s14
	s_set_inst_prefetch_distance 0x1
	s_branch .LBB121_12
	.p2align	6
.LBB121_11:                             ;   in Loop: Header=BB121_12 Depth=1
	s_or_b32 exec_lo, exec_lo, s10
	v_add_nc_u32_e32 v4, 60, v4
	s_add_i32 s3, s3, 2
	s_delay_alu instid0(SALU_CYCLE_1)
	s_cmp_ge_i32 s3, s2
	s_cbranch_scc1 .LBB121_14
.LBB121_12:                             ; =>This Inner Loop Header: Depth=1
	v_add_nc_u32_e32 v6, s3, v19
	s_mov_b32 s10, exec_lo
	s_delay_alu instid0(VALU_DEP_1)
	v_cmpx_gt_i32_e64 s2, v6
	s_cbranch_execz .LBB121_11
; %bb.13:                               ;   in Loop: Header=BB121_12 Depth=1
	v_ashrrev_i32_e32 v7, 31, v6
	v_lshlrev_b64 v[20:21], 4, v[4:5]
	s_delay_alu instid0(VALU_DEP_2) | instskip(SKIP_1) | instid1(VALU_DEP_1)
	v_lshlrev_b64 v[6:7], 2, v[6:7]
	s_waitcnt lgkmcnt(0)
	v_add_co_u32 v6, vcc_lo, s4, v6
	s_delay_alu instid0(VALU_DEP_2) | instskip(NEXT) | instid1(VALU_DEP_4)
	v_add_co_ci_u32_e32 v7, vcc_lo, s5, v7, vcc_lo
	v_add_co_u32 v20, vcc_lo, s6, v20
	v_add_co_ci_u32_e32 v21, vcc_lo, s7, v21, vcc_lo
	global_load_b32 v6, v[6:7], off
	s_waitcnt vmcnt(0)
	v_subrev_nc_u32_e32 v6, s14, v6
	s_delay_alu instid0(VALU_DEP_1) | instskip(NEXT) | instid1(VALU_DEP_1)
	v_lshl_or_b32 v6, v6, 1, v18
	v_ashrrev_i32_e32 v7, 31, v6
	s_delay_alu instid0(VALU_DEP_1) | instskip(NEXT) | instid1(VALU_DEP_1)
	v_lshlrev_b64 v[6:7], 4, v[6:7]
	v_add_co_u32 v6, vcc_lo, s0, v6
	s_delay_alu instid0(VALU_DEP_2)
	v_add_co_ci_u32_e32 v7, vcc_lo, s1, v7, vcc_lo
	global_load_b128 v[20:23], v[20:21], off
	global_load_b128 v[24:27], v[6:7], off
	s_waitcnt vmcnt(0)
	v_fma_f64 v[0:1], v[20:21], v[24:25], v[0:1]
	v_fma_f64 v[2:3], v[22:23], v[24:25], v[2:3]
	s_delay_alu instid0(VALU_DEP_2) | instskip(NEXT) | instid1(VALU_DEP_2)
	v_fma_f64 v[0:1], -v[22:23], v[26:27], v[0:1]
	v_fma_f64 v[2:3], v[20:21], v[26:27], v[2:3]
	s_branch .LBB121_11
.LBB121_14:
	s_set_inst_prefetch_distance 0x2
	v_lshlrev_b32_e32 v18, 4, v8
	s_waitcnt lgkmcnt(0)
	s_mov_b32 s0, exec_lo
	ds_store_b128 v18, v[0:3]
	s_waitcnt vmcnt(0) lgkmcnt(0)
	s_barrier
	buffer_gl0_inv
	v_cmpx_gt_u32_e32 30, v8
	s_cbranch_execz .LBB121_16
; %bb.15:
	ds_load_b128 v[4:7], v18 offset:480
	ds_load_b128 v[19:22], v18
	s_waitcnt lgkmcnt(0)
	v_add_f64 v[4:5], v[4:5], v[19:20]
	v_add_f64 v[6:7], v[6:7], v[21:22]
	ds_store_b128 v18, v[4:7]
.LBB121_16:
	s_or_b32 exec_lo, exec_lo, s0
	s_delay_alu instid0(SALU_CYCLE_1)
	s_and_b32 vcc_lo, exec_lo, s15
	s_waitcnt lgkmcnt(0)
	s_barrier
	buffer_gl0_inv
	s_cbranch_vccz .LBB121_22
; %bb.17:
	s_mov_b32 s0, exec_lo
	v_cmpx_eq_u32_e32 0, v17
	s_cbranch_execz .LBB121_19
; %bb.18:
	ds_load_b128 v[4:7], v18
	ds_load_b128 v[19:22], v18 offset:16
	s_waitcnt lgkmcnt(0)
	v_add_f64 v[4:5], v[19:20], v[4:5]
	v_add_f64 v[6:7], v[21:22], v[6:7]
	ds_store_b128 v18, v[4:7]
.LBB121_19:
	s_or_b32 exec_lo, exec_lo, s0
	v_dual_mov_b32 v7, v3 :: v_dual_mov_b32 v6, v2
	v_dual_mov_b32 v5, v1 :: v_dual_mov_b32 v4, v0
	s_mov_b32 s0, exec_lo
	s_waitcnt lgkmcnt(0)
	s_barrier
	buffer_gl0_inv
	v_cmpx_gt_u32_e32 15, v8
	s_cbranch_execz .LBB121_21
; %bb.20:
	v_lshl_add_u32 v4, v8, 4, v18
	ds_load_b128 v[4:7], v4
.LBB121_21:
	s_or_b32 exec_lo, exec_lo, s0
	s_branch .LBB121_28
.LBB121_22:
                                        ; implicit-def: $vgpr6_vgpr7
	s_cbranch_execz .LBB121_28
; %bb.23:
	s_mov_b32 s0, exec_lo
	v_cmpx_lt_u32_e32 14, v8
	s_xor_b32 s0, exec_lo, s0
	s_cbranch_execz .LBB121_25
; %bb.24:
	s_waitcnt lgkmcnt(0)
	buffer_gl0_inv
                                        ; implicit-def: $vgpr18
.LBB121_25:
	s_and_not1_saveexec_b32 s0, s0
	s_cbranch_execz .LBB121_27
; %bb.26:
	ds_load_b128 v[0:3], v18 offset:240
	s_waitcnt lgkmcnt(1)
	ds_load_b128 v[4:7], v18
	s_waitcnt lgkmcnt(0)
	v_add_f64 v[0:1], v[0:1], v[4:5]
	v_add_f64 v[2:3], v[2:3], v[6:7]
	ds_store_b128 v18, v[0:3]
	s_waitcnt lgkmcnt(0)
	buffer_gl0_inv
	ds_load_b128 v[0:3], v18
.LBB121_27:
	s_or_b32 exec_lo, exec_lo, s0
	s_waitcnt lgkmcnt(0)
	v_dual_mov_b32 v5, v1 :: v_dual_mov_b32 v4, v0
	v_dual_mov_b32 v7, v3 :: v_dual_mov_b32 v6, v2
.LBB121_28:
	v_cmp_gt_u32_e32 vcc_lo, 15, v8
	s_and_b32 exec_lo, exec_lo, vcc_lo
	s_cbranch_execz .LBB121_33
; %bb.29:
	s_waitcnt lgkmcnt(0)
	v_mul_f64 v[0:1], v[6:7], -v[15:16]
	v_mul_f64 v[2:3], v[13:14], v[6:7]
	v_cmp_eq_f64_e32 vcc_lo, 0, v[9:10]
	v_cmp_eq_f64_e64 s0, 0, v[11:12]
	s_delay_alu instid0(VALU_DEP_4) | instskip(NEXT) | instid1(VALU_DEP_4)
	v_fma_f64 v[0:1], v[13:14], v[4:5], v[0:1]
	v_fma_f64 v[2:3], v[15:16], v[4:5], v[2:3]
	s_delay_alu instid0(VALU_DEP_3) | instskip(NEXT) | instid1(SALU_CYCLE_1)
	s_and_b32 s0, vcc_lo, s0
	s_and_saveexec_b32 s1, s0
	s_delay_alu instid0(SALU_CYCLE_1)
	s_xor_b32 s0, exec_lo, s1
	s_cbranch_execz .LBB121_31
; %bb.30:
	v_mad_u64_u32 v[4:5], null, s12, 15, v[8:9]
	v_mov_b32_e32 v5, 0
                                        ; implicit-def: $vgpr8
                                        ; implicit-def: $vgpr9_vgpr10
                                        ; implicit-def: $vgpr11_vgpr12
	s_delay_alu instid0(VALU_DEP_1) | instskip(NEXT) | instid1(VALU_DEP_1)
	v_lshlrev_b64 v[4:5], 4, v[4:5]
	v_add_co_u32 v4, vcc_lo, s8, v4
	s_delay_alu instid0(VALU_DEP_2)
	v_add_co_ci_u32_e32 v5, vcc_lo, s9, v5, vcc_lo
	global_store_b128 v[4:5], v[0:3], off
                                        ; implicit-def: $vgpr0_vgpr1
.LBB121_31:
	s_and_not1_saveexec_b32 s0, s0
	s_cbranch_execz .LBB121_33
; %bb.32:
	v_mad_u64_u32 v[4:5], null, s12, 15, v[8:9]
	v_mov_b32_e32 v5, 0
	s_delay_alu instid0(VALU_DEP_1) | instskip(NEXT) | instid1(VALU_DEP_1)
	v_lshlrev_b64 v[4:5], 4, v[4:5]
	v_add_co_u32 v13, vcc_lo, s8, v4
	s_delay_alu instid0(VALU_DEP_2) | instskip(SKIP_4) | instid1(VALU_DEP_2)
	v_add_co_ci_u32_e32 v14, vcc_lo, s9, v5, vcc_lo
	global_load_b128 v[4:7], v[13:14], off
	s_waitcnt vmcnt(0)
	v_fma_f64 v[0:1], v[9:10], v[4:5], v[0:1]
	v_fma_f64 v[2:3], v[11:12], v[4:5], v[2:3]
	v_fma_f64 v[0:1], -v[11:12], v[6:7], v[0:1]
	s_delay_alu instid0(VALU_DEP_2)
	v_fma_f64 v[2:3], v[9:10], v[6:7], v[2:3]
	global_store_b128 v[13:14], v[0:3], off
.LBB121_33:
	s_nop 0
	s_sendmsg sendmsg(MSG_DEALLOC_VGPRS)
	s_endpgm
	.section	.rodata,"a",@progbits
	.p2align	6, 0x0
	.amdhsa_kernel _ZN9rocsparseL22gebsrmvn_mxn_16_kernelILj60ELj15ELj2E21rocsparse_complex_numIdEEEvi20rocsparse_direction_NS_24const_host_device_scalarIT2_EEPKiS8_PKS5_iiSA_S6_PS5_21rocsparse_index_base_b
		.amdhsa_group_segment_fixed_size 1920
		.amdhsa_private_segment_fixed_size 0
		.amdhsa_kernarg_size 96
		.amdhsa_user_sgpr_count 15
		.amdhsa_user_sgpr_dispatch_ptr 1
		.amdhsa_user_sgpr_queue_ptr 0
		.amdhsa_user_sgpr_kernarg_segment_ptr 1
		.amdhsa_user_sgpr_dispatch_id 0
		.amdhsa_user_sgpr_private_segment_size 0
		.amdhsa_wavefront_size32 1
		.amdhsa_uses_dynamic_stack 0
		.amdhsa_enable_private_segment 0
		.amdhsa_system_sgpr_workgroup_id_x 1
		.amdhsa_system_sgpr_workgroup_id_y 0
		.amdhsa_system_sgpr_workgroup_id_z 0
		.amdhsa_system_sgpr_workgroup_info 0
		.amdhsa_system_vgpr_workitem_id 2
		.amdhsa_next_free_vgpr 28
		.amdhsa_next_free_sgpr 18
		.amdhsa_reserve_vcc 1
		.amdhsa_float_round_mode_32 0
		.amdhsa_float_round_mode_16_64 0
		.amdhsa_float_denorm_mode_32 3
		.amdhsa_float_denorm_mode_16_64 3
		.amdhsa_dx10_clamp 1
		.amdhsa_ieee_mode 1
		.amdhsa_fp16_overflow 0
		.amdhsa_workgroup_processor_mode 1
		.amdhsa_memory_ordered 1
		.amdhsa_forward_progress 0
		.amdhsa_shared_vgpr_count 0
		.amdhsa_exception_fp_ieee_invalid_op 0
		.amdhsa_exception_fp_denorm_src 0
		.amdhsa_exception_fp_ieee_div_zero 0
		.amdhsa_exception_fp_ieee_overflow 0
		.amdhsa_exception_fp_ieee_underflow 0
		.amdhsa_exception_fp_ieee_inexact 0
		.amdhsa_exception_int_div_zero 0
	.end_amdhsa_kernel
	.section	.text._ZN9rocsparseL22gebsrmvn_mxn_16_kernelILj60ELj15ELj2E21rocsparse_complex_numIdEEEvi20rocsparse_direction_NS_24const_host_device_scalarIT2_EEPKiS8_PKS5_iiSA_S6_PS5_21rocsparse_index_base_b,"axG",@progbits,_ZN9rocsparseL22gebsrmvn_mxn_16_kernelILj60ELj15ELj2E21rocsparse_complex_numIdEEEvi20rocsparse_direction_NS_24const_host_device_scalarIT2_EEPKiS8_PKS5_iiSA_S6_PS5_21rocsparse_index_base_b,comdat
.Lfunc_end121:
	.size	_ZN9rocsparseL22gebsrmvn_mxn_16_kernelILj60ELj15ELj2E21rocsparse_complex_numIdEEEvi20rocsparse_direction_NS_24const_host_device_scalarIT2_EEPKiS8_PKS5_iiSA_S6_PS5_21rocsparse_index_base_b, .Lfunc_end121-_ZN9rocsparseL22gebsrmvn_mxn_16_kernelILj60ELj15ELj2E21rocsparse_complex_numIdEEEvi20rocsparse_direction_NS_24const_host_device_scalarIT2_EEPKiS8_PKS5_iiSA_S6_PS5_21rocsparse_index_base_b
                                        ; -- End function
	.section	.AMDGPU.csdata,"",@progbits
; Kernel info:
; codeLenInByte = 1428
; NumSgprs: 20
; NumVgprs: 28
; ScratchSize: 0
; MemoryBound: 0
; FloatMode: 240
; IeeeMode: 1
; LDSByteSize: 1920 bytes/workgroup (compile time only)
; SGPRBlocks: 2
; VGPRBlocks: 3
; NumSGPRsForWavesPerEU: 20
; NumVGPRsForWavesPerEU: 28
; Occupancy: 16
; WaveLimiterHint : 1
; COMPUTE_PGM_RSRC2:SCRATCH_EN: 0
; COMPUTE_PGM_RSRC2:USER_SGPR: 15
; COMPUTE_PGM_RSRC2:TRAP_HANDLER: 0
; COMPUTE_PGM_RSRC2:TGID_X_EN: 1
; COMPUTE_PGM_RSRC2:TGID_Y_EN: 0
; COMPUTE_PGM_RSRC2:TGID_Z_EN: 0
; COMPUTE_PGM_RSRC2:TIDIG_COMP_CNT: 2
	.section	.text._ZN9rocsparseL22gebsrmvn_mxn_16_kernelILj45ELj15ELj3E21rocsparse_complex_numIdEEEvi20rocsparse_direction_NS_24const_host_device_scalarIT2_EEPKiS8_PKS5_iiSA_S6_PS5_21rocsparse_index_base_b,"axG",@progbits,_ZN9rocsparseL22gebsrmvn_mxn_16_kernelILj45ELj15ELj3E21rocsparse_complex_numIdEEEvi20rocsparse_direction_NS_24const_host_device_scalarIT2_EEPKiS8_PKS5_iiSA_S6_PS5_21rocsparse_index_base_b,comdat
	.globl	_ZN9rocsparseL22gebsrmvn_mxn_16_kernelILj45ELj15ELj3E21rocsparse_complex_numIdEEEvi20rocsparse_direction_NS_24const_host_device_scalarIT2_EEPKiS8_PKS5_iiSA_S6_PS5_21rocsparse_index_base_b ; -- Begin function _ZN9rocsparseL22gebsrmvn_mxn_16_kernelILj45ELj15ELj3E21rocsparse_complex_numIdEEEvi20rocsparse_direction_NS_24const_host_device_scalarIT2_EEPKiS8_PKS5_iiSA_S6_PS5_21rocsparse_index_base_b
	.p2align	8
	.type	_ZN9rocsparseL22gebsrmvn_mxn_16_kernelILj45ELj15ELj3E21rocsparse_complex_numIdEEEvi20rocsparse_direction_NS_24const_host_device_scalarIT2_EEPKiS8_PKS5_iiSA_S6_PS5_21rocsparse_index_base_b,@function
_ZN9rocsparseL22gebsrmvn_mxn_16_kernelILj45ELj15ELj3E21rocsparse_complex_numIdEEEvi20rocsparse_direction_NS_24const_host_device_scalarIT2_EEPKiS8_PKS5_iiSA_S6_PS5_21rocsparse_index_base_b: ; @_ZN9rocsparseL22gebsrmvn_mxn_16_kernelILj45ELj15ELj3E21rocsparse_complex_numIdEEEvi20rocsparse_direction_NS_24const_host_device_scalarIT2_EEPKiS8_PKS5_iiSA_S6_PS5_21rocsparse_index_base_b
; %bb.0:
	s_mov_b32 s12, s15
	s_load_b64 s[14:15], s[2:3], 0x58
	s_load_b64 s[16:17], s[0:1], 0x4
	s_load_b128 s[8:11], s[2:3], 0x8
	v_bfe_u32 v1, v0, 10, 10
	s_mov_b64 s[0:1], src_shared_base
	s_load_b128 s[4:7], s[2:3], 0x40
	v_and_b32_e32 v8, 0x3ff, v0
	v_bfe_u32 v0, v0, 20, 10
	s_waitcnt lgkmcnt(0)
	s_bitcmp1_b32 s15, 0
	v_mul_u32_u24_e32 v1, s17, v1
	s_cselect_b32 s0, -1, 0
	v_mov_b32_e32 v16, s11
	s_and_b32 vcc_lo, s0, exec_lo
	s_cselect_b32 s13, s1, s9
	s_lshr_b32 s15, s16, 16
	v_dual_mov_b32 v2, s4 :: v_dual_mov_b32 v15, s10
	s_mul_i32 s15, s15, s17
	s_xor_b32 s10, s0, -1
	v_mad_u32_u24 v1, s15, v8, v1
	v_mov_b32_e32 v5, s13
	v_mov_b32_e32 v3, s5
	s_delay_alu instid0(VALU_DEP_3) | instskip(SKIP_1) | instid1(VALU_DEP_2)
	v_add_lshl_u32 v6, v1, v0, 3
	v_dual_mov_b32 v0, s8 :: v_dual_mov_b32 v1, s9
	v_add_nc_u32_e32 v4, 0x438, v6
	ds_store_2addr_b64 v6, v[2:3], v[0:1] offset0:90 offset1:135
	v_add_nc_u32_e32 v0, 0x2d0, v6
	v_cndmask_b32_e64 v4, s8, v4, s0
	flat_load_b64 v[13:14], v[4:5]
	s_cbranch_vccnz .LBB122_2
; %bb.1:
	v_dual_mov_b32 v1, s8 :: v_dual_mov_b32 v2, s9
	flat_load_b64 v[15:16], v[1:2] offset:8
.LBB122_2:
	s_and_b32 s8, s0, exec_lo
	s_cselect_b32 s1, s1, s5
	v_cndmask_b32_e64 v0, s4, v0, s0
	v_dual_mov_b32 v1, s1 :: v_dual_mov_b32 v12, s7
	v_mov_b32_e32 v11, s6
	s_and_not1_b32 vcc_lo, exec_lo, s10
	flat_load_b64 v[9:10], v[0:1]
	s_cbranch_vccnz .LBB122_4
; %bb.3:
	v_dual_mov_b32 v0, s4 :: v_dual_mov_b32 v1, s5
	flat_load_b64 v[11:12], v[0:1] offset:8
.LBB122_4:
	s_waitcnt vmcnt(1) lgkmcnt(1)
	v_cmp_eq_f64_e32 vcc_lo, 0, v[13:14]
	v_cmp_eq_f64_e64 s0, 0, v[15:16]
	s_delay_alu instid0(VALU_DEP_1)
	s_and_b32 s4, vcc_lo, s0
	s_mov_b32 s0, -1
	s_and_saveexec_b32 s1, s4
	s_cbranch_execz .LBB122_6
; %bb.5:
	s_waitcnt vmcnt(0) lgkmcnt(0)
	v_cmp_neq_f64_e32 vcc_lo, 1.0, v[9:10]
	v_cmp_neq_f64_e64 s0, 0, v[11:12]
	s_delay_alu instid0(VALU_DEP_1) | instskip(NEXT) | instid1(SALU_CYCLE_1)
	s_or_b32 s0, vcc_lo, s0
	s_or_not1_b32 s0, s0, exec_lo
.LBB122_6:
	s_or_b32 exec_lo, exec_lo, s1
	s_and_saveexec_b32 s1, s0
	s_cbranch_execz .LBB122_35
; %bb.7:
	v_mul_u32_u24_e32 v0, 0x5556, v8
	s_clause 0x1
	s_load_b32 s4, s[2:3], 0x4
	s_load_b64 s[0:1], s[2:3], 0x18
	s_delay_alu instid0(VALU_DEP_1) | instskip(NEXT) | instid1(VALU_DEP_1)
	v_lshrrev_b32_e32 v0, 16, v0
	v_mul_lo_u16 v0, v0, 3
	s_delay_alu instid0(VALU_DEP_1) | instskip(NEXT) | instid1(VALU_DEP_1)
	v_sub_nc_u16 v0, v8, v0
	v_and_b32_e32 v7, 0xffff, v0
	s_waitcnt lgkmcnt(0)
	s_cmp_lg_u32 s4, 1
	v_and_b32_e32 v5, 0xffff, v8
	s_cselect_b32 s15, -1, 0
	v_mov_b32_e32 v4, v7
	s_and_b32 vcc_lo, exec_lo, s15
	s_cbranch_vccnz .LBB122_9
; %bb.8:
	v_mul_u32_u24_e32 v0, 0x1112, v5
	s_delay_alu instid0(VALU_DEP_1) | instskip(NEXT) | instid1(VALU_DEP_1)
	v_lshrrev_b32_e32 v0, 16, v0
	v_mul_lo_u16 v1, 0x56, v0
	s_delay_alu instid0(VALU_DEP_1) | instskip(NEXT) | instid1(VALU_DEP_1)
	v_lshrrev_b16 v1, 8, v1
	v_mul_lo_u16 v1, v1, 3
	s_delay_alu instid0(VALU_DEP_1) | instskip(NEXT) | instid1(VALU_DEP_1)
	v_sub_nc_u16 v0, v0, v1
	v_and_b32_e32 v4, 0xff, v0
.LBB122_9:
	s_ashr_i32 s13, s12, 31
	v_mov_b32_e32 v2, 0
	s_lshl_b64 s[4:5], s[12:13], 2
	v_mov_b32_e32 v3, 0
	s_add_u32 s0, s0, s4
	s_addc_u32 s1, s1, s5
	v_mov_b32_e32 v0, v2
	s_load_b64 s[10:11], s[0:1], 0x0
	s_load_b64 s[8:9], s[2:3], 0x50
	v_mov_b32_e32 v1, v3
	s_waitcnt lgkmcnt(0)
	s_cmp_ge_i32 s10, s11
	s_cbranch_scc1 .LBB122_14
; %bb.10:
	s_clause 0x1
	s_load_b128 s[4:7], s[2:3], 0x20
	s_load_b64 s[0:1], s[2:3], 0x38
	s_waitcnt vmcnt(0)
	v_mad_u64_u32 v[0:1], null, s10, 45, v[8:9]
	v_mov_b32_e32 v2, 0
	v_mul_u32_u24_e32 v1, 0x5b1, v5
	v_dual_mov_b32 v3, 0 :: v_dual_mov_b32 v6, 0
	s_mul_i32 s2, s14, 45
	s_sub_i32 s3, s10, s14
	s_delay_alu instid0(VALU_DEP_2)
	v_lshrrev_b32_e32 v19, 16, v1
	v_subrev_nc_u32_e32 v5, s2, v0
	v_dual_mov_b32 v0, v2 :: v_dual_mov_b32 v1, v3
	s_sub_i32 s2, s11, s14
	s_set_inst_prefetch_distance 0x1
	s_branch .LBB122_12
	.p2align	6
.LBB122_11:                             ;   in Loop: Header=BB122_12 Depth=1
	s_or_b32 exec_lo, exec_lo, s10
	v_add_nc_u32_e32 v5, 45, v5
	s_add_i32 s3, s3, 1
	s_delay_alu instid0(SALU_CYCLE_1)
	s_cmp_ge_i32 s3, s2
	s_cbranch_scc1 .LBB122_14
.LBB122_12:                             ; =>This Inner Loop Header: Depth=1
	v_add_nc_u32_e32 v17, s3, v19
	s_mov_b32 s10, exec_lo
	s_delay_alu instid0(VALU_DEP_1)
	v_cmpx_gt_i32_e64 s2, v17
	s_cbranch_execz .LBB122_11
; %bb.13:                               ;   in Loop: Header=BB122_12 Depth=1
	v_ashrrev_i32_e32 v18, 31, v17
	s_delay_alu instid0(VALU_DEP_1) | instskip(SKIP_1) | instid1(VALU_DEP_1)
	v_lshlrev_b64 v[17:18], 2, v[17:18]
	s_waitcnt lgkmcnt(0)
	v_add_co_u32 v17, vcc_lo, s4, v17
	s_delay_alu instid0(VALU_DEP_2) | instskip(SKIP_3) | instid1(VALU_DEP_1)
	v_add_co_ci_u32_e32 v18, vcc_lo, s5, v18, vcc_lo
	global_load_b32 v17, v[17:18], off
	s_waitcnt vmcnt(0)
	v_subrev_nc_u32_e32 v20, s14, v17
	v_mad_u64_u32 v[17:18], null, v20, 3, v[4:5]
	v_lshlrev_b64 v[20:21], 4, v[5:6]
	s_delay_alu instid0(VALU_DEP_1) | instskip(NEXT) | instid1(VALU_DEP_3)
	v_add_co_u32 v20, vcc_lo, s6, v20
	v_ashrrev_i32_e32 v18, 31, v17
	s_delay_alu instid0(VALU_DEP_3) | instskip(NEXT) | instid1(VALU_DEP_2)
	v_add_co_ci_u32_e32 v21, vcc_lo, s7, v21, vcc_lo
	v_lshlrev_b64 v[17:18], 4, v[17:18]
	s_delay_alu instid0(VALU_DEP_1) | instskip(NEXT) | instid1(VALU_DEP_2)
	v_add_co_u32 v17, vcc_lo, s0, v17
	v_add_co_ci_u32_e32 v18, vcc_lo, s1, v18, vcc_lo
	global_load_b128 v[20:23], v[20:21], off
	global_load_b128 v[24:27], v[17:18], off
	s_waitcnt vmcnt(0)
	v_fma_f64 v[0:1], v[20:21], v[24:25], v[0:1]
	v_fma_f64 v[2:3], v[22:23], v[24:25], v[2:3]
	s_delay_alu instid0(VALU_DEP_2) | instskip(NEXT) | instid1(VALU_DEP_2)
	v_fma_f64 v[0:1], -v[22:23], v[26:27], v[0:1]
	v_fma_f64 v[2:3], v[20:21], v[26:27], v[2:3]
	s_branch .LBB122_11
.LBB122_14:
	s_set_inst_prefetch_distance 0x2
	v_lshlrev_b32_e32 v17, 4, v8
	s_and_b32 vcc_lo, exec_lo, s15
	ds_store_b128 v17, v[0:3]
	s_waitcnt vmcnt(0) lgkmcnt(0)
	s_barrier
	buffer_gl0_inv
	s_cbranch_vccz .LBB122_22
; %bb.15:
	v_cmp_eq_u16_e32 vcc_lo, 0, v7
	s_and_saveexec_b32 s0, vcc_lo
	s_cbranch_execz .LBB122_17
; %bb.16:
	ds_load_b128 v[4:7], v17
	ds_load_b128 v[18:21], v17 offset:32
	s_waitcnt lgkmcnt(0)
	v_add_f64 v[4:5], v[18:19], v[4:5]
	v_add_f64 v[6:7], v[20:21], v[6:7]
	ds_store_b128 v17, v[4:7]
.LBB122_17:
	s_or_b32 exec_lo, exec_lo, s0
	s_waitcnt lgkmcnt(0)
	s_barrier
	buffer_gl0_inv
	s_and_saveexec_b32 s0, vcc_lo
	s_cbranch_execz .LBB122_19
; %bb.18:
	ds_load_b128 v[4:7], v17
	ds_load_b128 v[18:21], v17 offset:16
	s_waitcnt lgkmcnt(0)
	v_add_f64 v[4:5], v[18:19], v[4:5]
	v_add_f64 v[6:7], v[20:21], v[6:7]
	ds_store_b128 v17, v[4:7]
.LBB122_19:
	s_or_b32 exec_lo, exec_lo, s0
	v_dual_mov_b32 v7, v3 :: v_dual_mov_b32 v6, v2
	v_dual_mov_b32 v5, v1 :: v_dual_mov_b32 v4, v0
	s_mov_b32 s0, exec_lo
	s_waitcnt lgkmcnt(0)
	s_barrier
	buffer_gl0_inv
	v_cmpx_gt_u32_e32 15, v8
	s_cbranch_execz .LBB122_21
; %bb.20:
	v_lshl_add_u32 v4, v8, 5, v17
	ds_load_b128 v[4:7], v4
.LBB122_21:
	s_or_b32 exec_lo, exec_lo, s0
	v_cmp_gt_u32_e64 s0, 15, v8
	s_branch .LBB122_30
.LBB122_22:
                                        ; implicit-def: $vgpr6_vgpr7
	v_cmp_gt_u32_e64 s0, 15, v8
	s_cbranch_execz .LBB122_30
; %bb.23:
	v_cmp_lt_u32_e32 vcc_lo, 14, v8
	s_delay_alu instid0(VALU_DEP_2)
	s_and_saveexec_b32 s1, s0
	s_cbranch_execz .LBB122_25
; %bb.24:
	s_waitcnt lgkmcnt(0)
	ds_load_b128 v[4:7], v17 offset:480
	ds_load_b128 v[18:21], v17
	s_waitcnt lgkmcnt(0)
	v_add_f64 v[4:5], v[4:5], v[18:19]
	v_add_f64 v[6:7], v[6:7], v[20:21]
	ds_store_b128 v17, v[4:7]
.LBB122_25:
	s_or_b32 exec_lo, exec_lo, s1
	s_waitcnt lgkmcnt(0)
	s_barrier
	buffer_gl0_inv
	s_and_saveexec_b32 s0, vcc_lo
	s_delay_alu instid0(SALU_CYCLE_1)
	s_xor_b32 s0, exec_lo, s0
	s_cbranch_execz .LBB122_27
; %bb.26:
	buffer_gl0_inv
                                        ; implicit-def: $vgpr17
.LBB122_27:
	s_and_not1_saveexec_b32 s0, s0
	s_cbranch_execz .LBB122_29
; %bb.28:
	ds_load_b128 v[0:3], v17 offset:240
	ds_load_b128 v[4:7], v17
	s_waitcnt lgkmcnt(0)
	v_add_f64 v[0:1], v[0:1], v[4:5]
	v_add_f64 v[2:3], v[2:3], v[6:7]
	ds_store_b128 v17, v[0:3]
	s_waitcnt lgkmcnt(0)
	buffer_gl0_inv
	ds_load_b128 v[0:3], v17
.LBB122_29:
	s_or_b32 exec_lo, exec_lo, s0
	s_waitcnt lgkmcnt(0)
	v_dual_mov_b32 v7, v3 :: v_dual_mov_b32 v6, v2
	v_dual_mov_b32 v5, v1 :: v_dual_mov_b32 v4, v0
.LBB122_30:
	v_cmp_gt_u32_e32 vcc_lo, 15, v8
	s_and_b32 exec_lo, exec_lo, vcc_lo
	s_cbranch_execz .LBB122_35
; %bb.31:
	s_waitcnt lgkmcnt(0)
	v_mul_f64 v[0:1], v[6:7], -v[15:16]
	v_mul_f64 v[2:3], v[13:14], v[6:7]
	v_cmp_eq_f64_e32 vcc_lo, 0, v[9:10]
	v_cmp_eq_f64_e64 s0, 0, v[11:12]
	s_delay_alu instid0(VALU_DEP_4) | instskip(NEXT) | instid1(VALU_DEP_4)
	v_fma_f64 v[0:1], v[13:14], v[4:5], v[0:1]
	v_fma_f64 v[2:3], v[15:16], v[4:5], v[2:3]
	s_delay_alu instid0(VALU_DEP_3) | instskip(NEXT) | instid1(SALU_CYCLE_1)
	s_and_b32 s0, vcc_lo, s0
	s_and_saveexec_b32 s1, s0
	s_delay_alu instid0(SALU_CYCLE_1)
	s_xor_b32 s0, exec_lo, s1
	s_cbranch_execz .LBB122_33
; %bb.32:
	v_mad_u64_u32 v[4:5], null, s12, 15, v[8:9]
	v_mov_b32_e32 v5, 0
                                        ; implicit-def: $vgpr8
                                        ; implicit-def: $vgpr9_vgpr10
                                        ; implicit-def: $vgpr11_vgpr12
	s_delay_alu instid0(VALU_DEP_1) | instskip(NEXT) | instid1(VALU_DEP_1)
	v_lshlrev_b64 v[4:5], 4, v[4:5]
	v_add_co_u32 v4, vcc_lo, s8, v4
	s_delay_alu instid0(VALU_DEP_2)
	v_add_co_ci_u32_e32 v5, vcc_lo, s9, v5, vcc_lo
	global_store_b128 v[4:5], v[0:3], off
                                        ; implicit-def: $vgpr0_vgpr1
.LBB122_33:
	s_and_not1_saveexec_b32 s0, s0
	s_cbranch_execz .LBB122_35
; %bb.34:
	v_mad_u64_u32 v[4:5], null, s12, 15, v[8:9]
	v_mov_b32_e32 v5, 0
	s_delay_alu instid0(VALU_DEP_1) | instskip(NEXT) | instid1(VALU_DEP_1)
	v_lshlrev_b64 v[4:5], 4, v[4:5]
	v_add_co_u32 v13, vcc_lo, s8, v4
	s_delay_alu instid0(VALU_DEP_2) | instskip(SKIP_4) | instid1(VALU_DEP_2)
	v_add_co_ci_u32_e32 v14, vcc_lo, s9, v5, vcc_lo
	global_load_b128 v[4:7], v[13:14], off
	s_waitcnt vmcnt(0)
	v_fma_f64 v[0:1], v[9:10], v[4:5], v[0:1]
	v_fma_f64 v[2:3], v[11:12], v[4:5], v[2:3]
	v_fma_f64 v[0:1], -v[11:12], v[6:7], v[0:1]
	s_delay_alu instid0(VALU_DEP_2)
	v_fma_f64 v[2:3], v[9:10], v[6:7], v[2:3]
	global_store_b128 v[13:14], v[0:3], off
.LBB122_35:
	s_nop 0
	s_sendmsg sendmsg(MSG_DEALLOC_VGPRS)
	s_endpgm
	.section	.rodata,"a",@progbits
	.p2align	6, 0x0
	.amdhsa_kernel _ZN9rocsparseL22gebsrmvn_mxn_16_kernelILj45ELj15ELj3E21rocsparse_complex_numIdEEEvi20rocsparse_direction_NS_24const_host_device_scalarIT2_EEPKiS8_PKS5_iiSA_S6_PS5_21rocsparse_index_base_b
		.amdhsa_group_segment_fixed_size 1440
		.amdhsa_private_segment_fixed_size 0
		.amdhsa_kernarg_size 96
		.amdhsa_user_sgpr_count 15
		.amdhsa_user_sgpr_dispatch_ptr 1
		.amdhsa_user_sgpr_queue_ptr 0
		.amdhsa_user_sgpr_kernarg_segment_ptr 1
		.amdhsa_user_sgpr_dispatch_id 0
		.amdhsa_user_sgpr_private_segment_size 0
		.amdhsa_wavefront_size32 1
		.amdhsa_uses_dynamic_stack 0
		.amdhsa_enable_private_segment 0
		.amdhsa_system_sgpr_workgroup_id_x 1
		.amdhsa_system_sgpr_workgroup_id_y 0
		.amdhsa_system_sgpr_workgroup_id_z 0
		.amdhsa_system_sgpr_workgroup_info 0
		.amdhsa_system_vgpr_workitem_id 2
		.amdhsa_next_free_vgpr 28
		.amdhsa_next_free_sgpr 18
		.amdhsa_reserve_vcc 1
		.amdhsa_float_round_mode_32 0
		.amdhsa_float_round_mode_16_64 0
		.amdhsa_float_denorm_mode_32 3
		.amdhsa_float_denorm_mode_16_64 3
		.amdhsa_dx10_clamp 1
		.amdhsa_ieee_mode 1
		.amdhsa_fp16_overflow 0
		.amdhsa_workgroup_processor_mode 1
		.amdhsa_memory_ordered 1
		.amdhsa_forward_progress 0
		.amdhsa_shared_vgpr_count 0
		.amdhsa_exception_fp_ieee_invalid_op 0
		.amdhsa_exception_fp_denorm_src 0
		.amdhsa_exception_fp_ieee_div_zero 0
		.amdhsa_exception_fp_ieee_overflow 0
		.amdhsa_exception_fp_ieee_underflow 0
		.amdhsa_exception_fp_ieee_inexact 0
		.amdhsa_exception_int_div_zero 0
	.end_amdhsa_kernel
	.section	.text._ZN9rocsparseL22gebsrmvn_mxn_16_kernelILj45ELj15ELj3E21rocsparse_complex_numIdEEEvi20rocsparse_direction_NS_24const_host_device_scalarIT2_EEPKiS8_PKS5_iiSA_S6_PS5_21rocsparse_index_base_b,"axG",@progbits,_ZN9rocsparseL22gebsrmvn_mxn_16_kernelILj45ELj15ELj3E21rocsparse_complex_numIdEEEvi20rocsparse_direction_NS_24const_host_device_scalarIT2_EEPKiS8_PKS5_iiSA_S6_PS5_21rocsparse_index_base_b,comdat
.Lfunc_end122:
	.size	_ZN9rocsparseL22gebsrmvn_mxn_16_kernelILj45ELj15ELj3E21rocsparse_complex_numIdEEEvi20rocsparse_direction_NS_24const_host_device_scalarIT2_EEPKiS8_PKS5_iiSA_S6_PS5_21rocsparse_index_base_b, .Lfunc_end122-_ZN9rocsparseL22gebsrmvn_mxn_16_kernelILj45ELj15ELj3E21rocsparse_complex_numIdEEEvi20rocsparse_direction_NS_24const_host_device_scalarIT2_EEPKiS8_PKS5_iiSA_S6_PS5_21rocsparse_index_base_b
                                        ; -- End function
	.section	.AMDGPU.csdata,"",@progbits
; Kernel info:
; codeLenInByte = 1600
; NumSgprs: 20
; NumVgprs: 28
; ScratchSize: 0
; MemoryBound: 0
; FloatMode: 240
; IeeeMode: 1
; LDSByteSize: 1440 bytes/workgroup (compile time only)
; SGPRBlocks: 2
; VGPRBlocks: 3
; NumSGPRsForWavesPerEU: 20
; NumVGPRsForWavesPerEU: 28
; Occupancy: 16
; WaveLimiterHint : 1
; COMPUTE_PGM_RSRC2:SCRATCH_EN: 0
; COMPUTE_PGM_RSRC2:USER_SGPR: 15
; COMPUTE_PGM_RSRC2:TRAP_HANDLER: 0
; COMPUTE_PGM_RSRC2:TGID_X_EN: 1
; COMPUTE_PGM_RSRC2:TGID_Y_EN: 0
; COMPUTE_PGM_RSRC2:TGID_Z_EN: 0
; COMPUTE_PGM_RSRC2:TIDIG_COMP_CNT: 2
	.section	.text._ZN9rocsparseL22gebsrmvn_mxn_16_kernelILj60ELj15ELj4E21rocsparse_complex_numIdEEEvi20rocsparse_direction_NS_24const_host_device_scalarIT2_EEPKiS8_PKS5_iiSA_S6_PS5_21rocsparse_index_base_b,"axG",@progbits,_ZN9rocsparseL22gebsrmvn_mxn_16_kernelILj60ELj15ELj4E21rocsparse_complex_numIdEEEvi20rocsparse_direction_NS_24const_host_device_scalarIT2_EEPKiS8_PKS5_iiSA_S6_PS5_21rocsparse_index_base_b,comdat
	.globl	_ZN9rocsparseL22gebsrmvn_mxn_16_kernelILj60ELj15ELj4E21rocsparse_complex_numIdEEEvi20rocsparse_direction_NS_24const_host_device_scalarIT2_EEPKiS8_PKS5_iiSA_S6_PS5_21rocsparse_index_base_b ; -- Begin function _ZN9rocsparseL22gebsrmvn_mxn_16_kernelILj60ELj15ELj4E21rocsparse_complex_numIdEEEvi20rocsparse_direction_NS_24const_host_device_scalarIT2_EEPKiS8_PKS5_iiSA_S6_PS5_21rocsparse_index_base_b
	.p2align	8
	.type	_ZN9rocsparseL22gebsrmvn_mxn_16_kernelILj60ELj15ELj4E21rocsparse_complex_numIdEEEvi20rocsparse_direction_NS_24const_host_device_scalarIT2_EEPKiS8_PKS5_iiSA_S6_PS5_21rocsparse_index_base_b,@function
_ZN9rocsparseL22gebsrmvn_mxn_16_kernelILj60ELj15ELj4E21rocsparse_complex_numIdEEEvi20rocsparse_direction_NS_24const_host_device_scalarIT2_EEPKiS8_PKS5_iiSA_S6_PS5_21rocsparse_index_base_b: ; @_ZN9rocsparseL22gebsrmvn_mxn_16_kernelILj60ELj15ELj4E21rocsparse_complex_numIdEEEvi20rocsparse_direction_NS_24const_host_device_scalarIT2_EEPKiS8_PKS5_iiSA_S6_PS5_21rocsparse_index_base_b
; %bb.0:
	s_mov_b32 s12, s15
	s_load_b64 s[14:15], s[2:3], 0x58
	s_load_b64 s[16:17], s[0:1], 0x4
	s_load_b128 s[8:11], s[2:3], 0x8
	v_bfe_u32 v1, v0, 10, 10
	s_mov_b64 s[0:1], src_shared_base
	s_load_b128 s[4:7], s[2:3], 0x40
	v_and_b32_e32 v8, 0x3ff, v0
	v_bfe_u32 v0, v0, 20, 10
	s_waitcnt lgkmcnt(0)
	s_bitcmp1_b32 s15, 0
	v_mul_u32_u24_e32 v1, s17, v1
	s_cselect_b32 s0, -1, 0
	v_mov_b32_e32 v16, s11
	s_and_b32 vcc_lo, s0, exec_lo
	s_cselect_b32 s13, s1, s9
	s_lshr_b32 s15, s16, 16
	v_dual_mov_b32 v2, s4 :: v_dual_mov_b32 v15, s10
	s_mul_i32 s15, s15, s17
	s_xor_b32 s10, s0, -1
	v_mad_u32_u24 v1, s15, v8, v1
	v_mov_b32_e32 v5, s13
	v_mov_b32_e32 v3, s5
	s_delay_alu instid0(VALU_DEP_3) | instskip(SKIP_1) | instid1(VALU_DEP_2)
	v_add_lshl_u32 v6, v1, v0, 3
	v_dual_mov_b32 v0, s8 :: v_dual_mov_b32 v1, s9
	v_add_nc_u32_e32 v4, 0x5a0, v6
	ds_store_2addr_b64 v6, v[2:3], v[0:1] offset0:120 offset1:180
	v_add_nc_u32_e32 v0, 0x3c0, v6
	v_cndmask_b32_e64 v4, s8, v4, s0
	flat_load_b64 v[13:14], v[4:5]
	s_cbranch_vccnz .LBB123_2
; %bb.1:
	v_dual_mov_b32 v1, s8 :: v_dual_mov_b32 v2, s9
	flat_load_b64 v[15:16], v[1:2] offset:8
.LBB123_2:
	s_and_b32 s8, s0, exec_lo
	s_cselect_b32 s1, s1, s5
	v_cndmask_b32_e64 v0, s4, v0, s0
	v_dual_mov_b32 v1, s1 :: v_dual_mov_b32 v12, s7
	v_mov_b32_e32 v11, s6
	s_and_not1_b32 vcc_lo, exec_lo, s10
	flat_load_b64 v[9:10], v[0:1]
	s_cbranch_vccnz .LBB123_4
; %bb.3:
	v_dual_mov_b32 v0, s4 :: v_dual_mov_b32 v1, s5
	flat_load_b64 v[11:12], v[0:1] offset:8
.LBB123_4:
	s_waitcnt vmcnt(1) lgkmcnt(1)
	v_cmp_eq_f64_e32 vcc_lo, 0, v[13:14]
	v_cmp_eq_f64_e64 s0, 0, v[15:16]
	s_delay_alu instid0(VALU_DEP_1)
	s_and_b32 s4, vcc_lo, s0
	s_mov_b32 s0, -1
	s_and_saveexec_b32 s1, s4
	s_cbranch_execz .LBB123_6
; %bb.5:
	s_waitcnt vmcnt(0) lgkmcnt(0)
	v_cmp_neq_f64_e32 vcc_lo, 1.0, v[9:10]
	v_cmp_neq_f64_e64 s0, 0, v[11:12]
	s_delay_alu instid0(VALU_DEP_1) | instskip(NEXT) | instid1(SALU_CYCLE_1)
	s_or_b32 s0, vcc_lo, s0
	s_or_not1_b32 s0, s0, exec_lo
.LBB123_6:
	s_or_b32 exec_lo, exec_lo, s1
	s_and_saveexec_b32 s1, s0
	s_cbranch_execz .LBB123_35
; %bb.7:
	s_clause 0x1
	s_load_b32 s4, s[2:3], 0x4
	s_load_b64 s[0:1], s[2:3], 0x18
	v_and_b32_e32 v18, 3, v8
	s_delay_alu instid0(VALU_DEP_1) | instskip(SKIP_3) | instid1(SALU_CYCLE_1)
	v_mov_b32_e32 v17, v18
	s_waitcnt lgkmcnt(0)
	s_cmp_lg_u32 s4, 1
	s_cselect_b32 s15, -1, 0
	s_and_b32 vcc_lo, exec_lo, s15
	s_cbranch_vccnz .LBB123_9
; %bb.8:
	v_mul_u32_u24_e32 v0, 0x1112, v8
	s_delay_alu instid0(VALU_DEP_1)
	v_bfe_u32 v17, v0, 16, 2
.LBB123_9:
	s_ashr_i32 s13, s12, 31
	v_mov_b32_e32 v2, 0
	s_lshl_b64 s[4:5], s[12:13], 2
	v_mov_b32_e32 v3, 0
	s_add_u32 s0, s0, s4
	s_addc_u32 s1, s1, s5
	v_mov_b32_e32 v0, v2
	s_load_b64 s[10:11], s[0:1], 0x0
	s_load_b64 s[8:9], s[2:3], 0x50
	v_mov_b32_e32 v1, v3
	s_waitcnt lgkmcnt(0)
	s_cmp_ge_i32 s10, s11
	s_cbranch_scc1 .LBB123_14
; %bb.10:
	s_clause 0x1
	s_load_b128 s[4:7], s[2:3], 0x20
	s_load_b64 s[0:1], s[2:3], 0x38
	s_waitcnt vmcnt(0)
	v_mad_u64_u32 v[0:1], null, s10, 60, v[8:9]
	v_dual_mov_b32 v2, 0 :: v_dual_mov_b32 v5, 0
	v_mul_u32_u24_e32 v1, 0x445, v8
	v_mov_b32_e32 v3, 0
	s_mul_i32 s2, s14, 60
	s_sub_i32 s3, s10, s14
	s_delay_alu instid0(VALU_DEP_4)
	v_subrev_nc_u32_e32 v4, s2, v0
	v_lshrrev_b32_e32 v19, 16, v1
	v_dual_mov_b32 v0, v2 :: v_dual_mov_b32 v1, v3
	s_sub_i32 s2, s11, s14
	s_set_inst_prefetch_distance 0x1
	s_branch .LBB123_12
	.p2align	6
.LBB123_11:                             ;   in Loop: Header=BB123_12 Depth=1
	s_or_b32 exec_lo, exec_lo, s10
	v_add_nc_u32_e32 v4, 60, v4
	s_add_i32 s3, s3, 1
	s_delay_alu instid0(SALU_CYCLE_1)
	s_cmp_ge_i32 s3, s2
	s_cbranch_scc1 .LBB123_14
.LBB123_12:                             ; =>This Inner Loop Header: Depth=1
	v_add_nc_u32_e32 v6, s3, v19
	s_mov_b32 s10, exec_lo
	s_delay_alu instid0(VALU_DEP_1)
	v_cmpx_gt_i32_e64 s2, v6
	s_cbranch_execz .LBB123_11
; %bb.13:                               ;   in Loop: Header=BB123_12 Depth=1
	v_ashrrev_i32_e32 v7, 31, v6
	v_lshlrev_b64 v[20:21], 4, v[4:5]
	s_delay_alu instid0(VALU_DEP_2) | instskip(SKIP_1) | instid1(VALU_DEP_1)
	v_lshlrev_b64 v[6:7], 2, v[6:7]
	s_waitcnt lgkmcnt(0)
	v_add_co_u32 v6, vcc_lo, s4, v6
	s_delay_alu instid0(VALU_DEP_2) | instskip(NEXT) | instid1(VALU_DEP_4)
	v_add_co_ci_u32_e32 v7, vcc_lo, s5, v7, vcc_lo
	v_add_co_u32 v20, vcc_lo, s6, v20
	v_add_co_ci_u32_e32 v21, vcc_lo, s7, v21, vcc_lo
	global_load_b32 v6, v[6:7], off
	s_waitcnt vmcnt(0)
	v_subrev_nc_u32_e32 v6, s14, v6
	s_delay_alu instid0(VALU_DEP_1) | instskip(NEXT) | instid1(VALU_DEP_1)
	v_lshl_or_b32 v6, v6, 2, v17
	v_ashrrev_i32_e32 v7, 31, v6
	s_delay_alu instid0(VALU_DEP_1) | instskip(NEXT) | instid1(VALU_DEP_1)
	v_lshlrev_b64 v[6:7], 4, v[6:7]
	v_add_co_u32 v6, vcc_lo, s0, v6
	s_delay_alu instid0(VALU_DEP_2)
	v_add_co_ci_u32_e32 v7, vcc_lo, s1, v7, vcc_lo
	global_load_b128 v[20:23], v[20:21], off
	global_load_b128 v[24:27], v[6:7], off
	s_waitcnt vmcnt(0)
	v_fma_f64 v[0:1], v[20:21], v[24:25], v[0:1]
	v_fma_f64 v[2:3], v[22:23], v[24:25], v[2:3]
	s_delay_alu instid0(VALU_DEP_2) | instskip(NEXT) | instid1(VALU_DEP_2)
	v_fma_f64 v[0:1], -v[22:23], v[26:27], v[0:1]
	v_fma_f64 v[2:3], v[20:21], v[26:27], v[2:3]
	s_branch .LBB123_11
.LBB123_14:
	s_set_inst_prefetch_distance 0x2
	v_lshlrev_b32_e32 v17, 4, v8
	s_and_b32 vcc_lo, exec_lo, s15
	ds_store_b128 v17, v[0:3]
	s_waitcnt vmcnt(0) lgkmcnt(0)
	s_barrier
	buffer_gl0_inv
	s_cbranch_vccz .LBB123_22
; %bb.15:
	s_mov_b32 s0, exec_lo
	v_cmpx_gt_u32_e32 2, v18
	s_cbranch_execz .LBB123_17
; %bb.16:
	ds_load_b128 v[4:7], v17
	ds_load_b128 v[19:22], v17 offset:32
	s_waitcnt lgkmcnt(0)
	v_add_f64 v[4:5], v[19:20], v[4:5]
	v_add_f64 v[6:7], v[21:22], v[6:7]
	ds_store_b128 v17, v[4:7]
.LBB123_17:
	s_or_b32 exec_lo, exec_lo, s0
	s_delay_alu instid0(SALU_CYCLE_1)
	s_mov_b32 s0, exec_lo
	s_waitcnt lgkmcnt(0)
	s_barrier
	buffer_gl0_inv
	v_cmpx_eq_u32_e32 0, v18
	s_cbranch_execz .LBB123_19
; %bb.18:
	ds_load_b128 v[4:7], v17
	ds_load_b128 v[18:21], v17 offset:16
	s_waitcnt lgkmcnt(0)
	v_add_f64 v[4:5], v[18:19], v[4:5]
	v_add_f64 v[6:7], v[20:21], v[6:7]
	ds_store_b128 v17, v[4:7]
.LBB123_19:
	s_or_b32 exec_lo, exec_lo, s0
	v_dual_mov_b32 v7, v3 :: v_dual_mov_b32 v6, v2
	v_dual_mov_b32 v5, v1 :: v_dual_mov_b32 v4, v0
	s_mov_b32 s0, exec_lo
	s_waitcnt lgkmcnt(0)
	s_barrier
	buffer_gl0_inv
	v_cmpx_gt_u32_e32 15, v8
	s_cbranch_execz .LBB123_21
; %bb.20:
	v_mad_u32_u24 v4, v8, 48, v17
	ds_load_b128 v[4:7], v4
.LBB123_21:
	s_or_b32 exec_lo, exec_lo, s0
	s_branch .LBB123_30
.LBB123_22:
                                        ; implicit-def: $vgpr6_vgpr7
	s_cbranch_execz .LBB123_30
; %bb.23:
	s_mov_b32 s0, exec_lo
	v_cmpx_gt_u32_e32 30, v8
	s_cbranch_execz .LBB123_25
; %bb.24:
	s_waitcnt lgkmcnt(0)
	ds_load_b128 v[4:7], v17 offset:480
	ds_load_b128 v[18:21], v17
	s_waitcnt lgkmcnt(0)
	v_add_f64 v[4:5], v[4:5], v[18:19]
	v_add_f64 v[6:7], v[6:7], v[20:21]
	ds_store_b128 v17, v[4:7]
.LBB123_25:
	s_or_b32 exec_lo, exec_lo, s0
	s_delay_alu instid0(SALU_CYCLE_1)
	s_mov_b32 s0, exec_lo
	s_waitcnt lgkmcnt(0)
	buffer_gl0_inv
	v_cmpx_lt_u32_e32 14, v8
	s_xor_b32 s0, exec_lo, s0
	s_cbranch_execz .LBB123_27
; %bb.26:
	buffer_gl0_inv
                                        ; implicit-def: $vgpr17
.LBB123_27:
	s_and_not1_saveexec_b32 s0, s0
	s_cbranch_execz .LBB123_29
; %bb.28:
	ds_load_b128 v[0:3], v17 offset:240
	ds_load_b128 v[4:7], v17
	s_waitcnt lgkmcnt(0)
	v_add_f64 v[0:1], v[0:1], v[4:5]
	v_add_f64 v[2:3], v[2:3], v[6:7]
	ds_store_b128 v17, v[0:3]
	s_waitcnt lgkmcnt(0)
	buffer_gl0_inv
	ds_load_b128 v[0:3], v17
.LBB123_29:
	s_or_b32 exec_lo, exec_lo, s0
	s_waitcnt lgkmcnt(0)
	v_dual_mov_b32 v7, v3 :: v_dual_mov_b32 v6, v2
	v_dual_mov_b32 v5, v1 :: v_dual_mov_b32 v4, v0
.LBB123_30:
	v_cmp_gt_u32_e32 vcc_lo, 15, v8
	s_and_b32 exec_lo, exec_lo, vcc_lo
	s_cbranch_execz .LBB123_35
; %bb.31:
	s_waitcnt lgkmcnt(0)
	v_mul_f64 v[0:1], v[6:7], -v[15:16]
	v_mul_f64 v[2:3], v[13:14], v[6:7]
	v_cmp_eq_f64_e32 vcc_lo, 0, v[9:10]
	v_cmp_eq_f64_e64 s0, 0, v[11:12]
	s_delay_alu instid0(VALU_DEP_4) | instskip(NEXT) | instid1(VALU_DEP_4)
	v_fma_f64 v[0:1], v[13:14], v[4:5], v[0:1]
	v_fma_f64 v[2:3], v[15:16], v[4:5], v[2:3]
	s_delay_alu instid0(VALU_DEP_3) | instskip(NEXT) | instid1(SALU_CYCLE_1)
	s_and_b32 s0, vcc_lo, s0
	s_and_saveexec_b32 s1, s0
	s_delay_alu instid0(SALU_CYCLE_1)
	s_xor_b32 s0, exec_lo, s1
	s_cbranch_execz .LBB123_33
; %bb.32:
	v_mad_u64_u32 v[4:5], null, s12, 15, v[8:9]
	v_mov_b32_e32 v5, 0
                                        ; implicit-def: $vgpr8
                                        ; implicit-def: $vgpr9_vgpr10
                                        ; implicit-def: $vgpr11_vgpr12
	s_delay_alu instid0(VALU_DEP_1) | instskip(NEXT) | instid1(VALU_DEP_1)
	v_lshlrev_b64 v[4:5], 4, v[4:5]
	v_add_co_u32 v4, vcc_lo, s8, v4
	s_delay_alu instid0(VALU_DEP_2)
	v_add_co_ci_u32_e32 v5, vcc_lo, s9, v5, vcc_lo
	global_store_b128 v[4:5], v[0:3], off
                                        ; implicit-def: $vgpr0_vgpr1
.LBB123_33:
	s_and_not1_saveexec_b32 s0, s0
	s_cbranch_execz .LBB123_35
; %bb.34:
	v_mad_u64_u32 v[4:5], null, s12, 15, v[8:9]
	v_mov_b32_e32 v5, 0
	s_delay_alu instid0(VALU_DEP_1) | instskip(NEXT) | instid1(VALU_DEP_1)
	v_lshlrev_b64 v[4:5], 4, v[4:5]
	v_add_co_u32 v13, vcc_lo, s8, v4
	s_delay_alu instid0(VALU_DEP_2) | instskip(SKIP_4) | instid1(VALU_DEP_2)
	v_add_co_ci_u32_e32 v14, vcc_lo, s9, v5, vcc_lo
	global_load_b128 v[4:7], v[13:14], off
	s_waitcnt vmcnt(0)
	v_fma_f64 v[0:1], v[9:10], v[4:5], v[0:1]
	v_fma_f64 v[2:3], v[11:12], v[4:5], v[2:3]
	v_fma_f64 v[0:1], -v[11:12], v[6:7], v[0:1]
	s_delay_alu instid0(VALU_DEP_2)
	v_fma_f64 v[2:3], v[9:10], v[6:7], v[2:3]
	global_store_b128 v[13:14], v[0:3], off
.LBB123_35:
	s_nop 0
	s_sendmsg sendmsg(MSG_DEALLOC_VGPRS)
	s_endpgm
	.section	.rodata,"a",@progbits
	.p2align	6, 0x0
	.amdhsa_kernel _ZN9rocsparseL22gebsrmvn_mxn_16_kernelILj60ELj15ELj4E21rocsparse_complex_numIdEEEvi20rocsparse_direction_NS_24const_host_device_scalarIT2_EEPKiS8_PKS5_iiSA_S6_PS5_21rocsparse_index_base_b
		.amdhsa_group_segment_fixed_size 1920
		.amdhsa_private_segment_fixed_size 0
		.amdhsa_kernarg_size 96
		.amdhsa_user_sgpr_count 15
		.amdhsa_user_sgpr_dispatch_ptr 1
		.amdhsa_user_sgpr_queue_ptr 0
		.amdhsa_user_sgpr_kernarg_segment_ptr 1
		.amdhsa_user_sgpr_dispatch_id 0
		.amdhsa_user_sgpr_private_segment_size 0
		.amdhsa_wavefront_size32 1
		.amdhsa_uses_dynamic_stack 0
		.amdhsa_enable_private_segment 0
		.amdhsa_system_sgpr_workgroup_id_x 1
		.amdhsa_system_sgpr_workgroup_id_y 0
		.amdhsa_system_sgpr_workgroup_id_z 0
		.amdhsa_system_sgpr_workgroup_info 0
		.amdhsa_system_vgpr_workitem_id 2
		.amdhsa_next_free_vgpr 28
		.amdhsa_next_free_sgpr 18
		.amdhsa_reserve_vcc 1
		.amdhsa_float_round_mode_32 0
		.amdhsa_float_round_mode_16_64 0
		.amdhsa_float_denorm_mode_32 3
		.amdhsa_float_denorm_mode_16_64 3
		.amdhsa_dx10_clamp 1
		.amdhsa_ieee_mode 1
		.amdhsa_fp16_overflow 0
		.amdhsa_workgroup_processor_mode 1
		.amdhsa_memory_ordered 1
		.amdhsa_forward_progress 0
		.amdhsa_shared_vgpr_count 0
		.amdhsa_exception_fp_ieee_invalid_op 0
		.amdhsa_exception_fp_denorm_src 0
		.amdhsa_exception_fp_ieee_div_zero 0
		.amdhsa_exception_fp_ieee_overflow 0
		.amdhsa_exception_fp_ieee_underflow 0
		.amdhsa_exception_fp_ieee_inexact 0
		.amdhsa_exception_int_div_zero 0
	.end_amdhsa_kernel
	.section	.text._ZN9rocsparseL22gebsrmvn_mxn_16_kernelILj60ELj15ELj4E21rocsparse_complex_numIdEEEvi20rocsparse_direction_NS_24const_host_device_scalarIT2_EEPKiS8_PKS5_iiSA_S6_PS5_21rocsparse_index_base_b,"axG",@progbits,_ZN9rocsparseL22gebsrmvn_mxn_16_kernelILj60ELj15ELj4E21rocsparse_complex_numIdEEEvi20rocsparse_direction_NS_24const_host_device_scalarIT2_EEPKiS8_PKS5_iiSA_S6_PS5_21rocsparse_index_base_b,comdat
.Lfunc_end123:
	.size	_ZN9rocsparseL22gebsrmvn_mxn_16_kernelILj60ELj15ELj4E21rocsparse_complex_numIdEEEvi20rocsparse_direction_NS_24const_host_device_scalarIT2_EEPKiS8_PKS5_iiSA_S6_PS5_21rocsparse_index_base_b, .Lfunc_end123-_ZN9rocsparseL22gebsrmvn_mxn_16_kernelILj60ELj15ELj4E21rocsparse_complex_numIdEEEvi20rocsparse_direction_NS_24const_host_device_scalarIT2_EEPKiS8_PKS5_iiSA_S6_PS5_21rocsparse_index_base_b
                                        ; -- End function
	.section	.AMDGPU.csdata,"",@progbits
; Kernel info:
; codeLenInByte = 1496
; NumSgprs: 20
; NumVgprs: 28
; ScratchSize: 0
; MemoryBound: 0
; FloatMode: 240
; IeeeMode: 1
; LDSByteSize: 1920 bytes/workgroup (compile time only)
; SGPRBlocks: 2
; VGPRBlocks: 3
; NumSGPRsForWavesPerEU: 20
; NumVGPRsForWavesPerEU: 28
; Occupancy: 16
; WaveLimiterHint : 1
; COMPUTE_PGM_RSRC2:SCRATCH_EN: 0
; COMPUTE_PGM_RSRC2:USER_SGPR: 15
; COMPUTE_PGM_RSRC2:TRAP_HANDLER: 0
; COMPUTE_PGM_RSRC2:TGID_X_EN: 1
; COMPUTE_PGM_RSRC2:TGID_Y_EN: 0
; COMPUTE_PGM_RSRC2:TGID_Z_EN: 0
; COMPUTE_PGM_RSRC2:TIDIG_COMP_CNT: 2
	.section	.text._ZN9rocsparseL22gebsrmvn_mxn_16_kernelILj75ELj15ELj5E21rocsparse_complex_numIdEEEvi20rocsparse_direction_NS_24const_host_device_scalarIT2_EEPKiS8_PKS5_iiSA_S6_PS5_21rocsparse_index_base_b,"axG",@progbits,_ZN9rocsparseL22gebsrmvn_mxn_16_kernelILj75ELj15ELj5E21rocsparse_complex_numIdEEEvi20rocsparse_direction_NS_24const_host_device_scalarIT2_EEPKiS8_PKS5_iiSA_S6_PS5_21rocsparse_index_base_b,comdat
	.globl	_ZN9rocsparseL22gebsrmvn_mxn_16_kernelILj75ELj15ELj5E21rocsparse_complex_numIdEEEvi20rocsparse_direction_NS_24const_host_device_scalarIT2_EEPKiS8_PKS5_iiSA_S6_PS5_21rocsparse_index_base_b ; -- Begin function _ZN9rocsparseL22gebsrmvn_mxn_16_kernelILj75ELj15ELj5E21rocsparse_complex_numIdEEEvi20rocsparse_direction_NS_24const_host_device_scalarIT2_EEPKiS8_PKS5_iiSA_S6_PS5_21rocsparse_index_base_b
	.p2align	8
	.type	_ZN9rocsparseL22gebsrmvn_mxn_16_kernelILj75ELj15ELj5E21rocsparse_complex_numIdEEEvi20rocsparse_direction_NS_24const_host_device_scalarIT2_EEPKiS8_PKS5_iiSA_S6_PS5_21rocsparse_index_base_b,@function
_ZN9rocsparseL22gebsrmvn_mxn_16_kernelILj75ELj15ELj5E21rocsparse_complex_numIdEEEvi20rocsparse_direction_NS_24const_host_device_scalarIT2_EEPKiS8_PKS5_iiSA_S6_PS5_21rocsparse_index_base_b: ; @_ZN9rocsparseL22gebsrmvn_mxn_16_kernelILj75ELj15ELj5E21rocsparse_complex_numIdEEEvi20rocsparse_direction_NS_24const_host_device_scalarIT2_EEPKiS8_PKS5_iiSA_S6_PS5_21rocsparse_index_base_b
; %bb.0:
	s_mov_b32 s12, s15
	s_load_b64 s[14:15], s[2:3], 0x58
	s_load_b64 s[16:17], s[0:1], 0x4
	s_load_b128 s[8:11], s[2:3], 0x8
	v_bfe_u32 v1, v0, 10, 10
	s_mov_b64 s[0:1], src_shared_base
	s_load_b128 s[4:7], s[2:3], 0x40
	v_and_b32_e32 v8, 0x3ff, v0
	v_bfe_u32 v0, v0, 20, 10
	s_waitcnt lgkmcnt(0)
	s_bitcmp1_b32 s15, 0
	v_mul_u32_u24_e32 v1, s17, v1
	s_cselect_b32 s0, -1, 0
	v_mov_b32_e32 v16, s11
	s_and_b32 vcc_lo, s0, exec_lo
	s_cselect_b32 s13, s1, s9
	s_lshr_b32 s15, s16, 16
	v_dual_mov_b32 v2, s4 :: v_dual_mov_b32 v15, s10
	s_mul_i32 s15, s15, s17
	s_xor_b32 s10, s0, -1
	v_mad_u32_u24 v1, s15, v8, v1
	v_mov_b32_e32 v5, s13
	v_mov_b32_e32 v3, s5
	s_delay_alu instid0(VALU_DEP_3) | instskip(SKIP_1) | instid1(VALU_DEP_2)
	v_add_lshl_u32 v6, v1, v0, 3
	v_dual_mov_b32 v0, s8 :: v_dual_mov_b32 v1, s9
	v_add_nc_u32_e32 v4, 0x708, v6
	ds_store_2addr_b64 v6, v[2:3], v[0:1] offset0:150 offset1:225
	v_add_nc_u32_e32 v0, 0x4b0, v6
	v_cndmask_b32_e64 v4, s8, v4, s0
	flat_load_b64 v[13:14], v[4:5]
	s_cbranch_vccnz .LBB124_2
; %bb.1:
	v_dual_mov_b32 v1, s8 :: v_dual_mov_b32 v2, s9
	flat_load_b64 v[15:16], v[1:2] offset:8
.LBB124_2:
	s_and_b32 s8, s0, exec_lo
	s_cselect_b32 s1, s1, s5
	v_cndmask_b32_e64 v0, s4, v0, s0
	v_dual_mov_b32 v1, s1 :: v_dual_mov_b32 v12, s7
	v_mov_b32_e32 v11, s6
	s_and_not1_b32 vcc_lo, exec_lo, s10
	flat_load_b64 v[9:10], v[0:1]
	s_cbranch_vccnz .LBB124_4
; %bb.3:
	v_dual_mov_b32 v0, s4 :: v_dual_mov_b32 v1, s5
	flat_load_b64 v[11:12], v[0:1] offset:8
.LBB124_4:
	s_waitcnt vmcnt(1) lgkmcnt(1)
	v_cmp_eq_f64_e32 vcc_lo, 0, v[13:14]
	v_cmp_eq_f64_e64 s0, 0, v[15:16]
	s_delay_alu instid0(VALU_DEP_1)
	s_and_b32 s4, vcc_lo, s0
	s_mov_b32 s0, -1
	s_and_saveexec_b32 s1, s4
	s_cbranch_execz .LBB124_6
; %bb.5:
	s_waitcnt vmcnt(0) lgkmcnt(0)
	v_cmp_neq_f64_e32 vcc_lo, 1.0, v[9:10]
	v_cmp_neq_f64_e64 s0, 0, v[11:12]
	s_delay_alu instid0(VALU_DEP_1) | instskip(NEXT) | instid1(SALU_CYCLE_1)
	s_or_b32 s0, vcc_lo, s0
	s_or_not1_b32 s0, s0, exec_lo
.LBB124_6:
	s_or_b32 exec_lo, exec_lo, s1
	s_and_saveexec_b32 s1, s0
	s_cbranch_execz .LBB124_39
; %bb.7:
	v_mul_u32_u24_e32 v0, 0x3334, v8
	s_clause 0x1
	s_load_b32 s4, s[2:3], 0x4
	s_load_b64 s[0:1], s[2:3], 0x18
	s_delay_alu instid0(VALU_DEP_1) | instskip(NEXT) | instid1(VALU_DEP_1)
	v_lshrrev_b32_e32 v0, 16, v0
	v_mul_lo_u16 v0, v0, 5
	s_delay_alu instid0(VALU_DEP_1) | instskip(NEXT) | instid1(VALU_DEP_1)
	v_sub_nc_u16 v0, v8, v0
	v_and_b32_e32 v7, 0xffff, v0
	s_waitcnt lgkmcnt(0)
	s_cmp_lg_u32 s4, 1
	v_and_b32_e32 v5, 0xffff, v8
	s_cselect_b32 s15, -1, 0
	v_mov_b32_e32 v4, v7
	s_and_b32 vcc_lo, exec_lo, s15
	s_cbranch_vccnz .LBB124_9
; %bb.8:
	v_mul_u32_u24_e32 v0, 0x1112, v5
	s_delay_alu instid0(VALU_DEP_1) | instskip(NEXT) | instid1(VALU_DEP_1)
	v_lshrrev_b32_e32 v0, 16, v0
	v_mul_lo_u16 v1, v0, 52
	s_delay_alu instid0(VALU_DEP_1) | instskip(NEXT) | instid1(VALU_DEP_1)
	v_lshrrev_b16 v1, 8, v1
	v_mul_lo_u16 v1, v1, 5
	s_delay_alu instid0(VALU_DEP_1) | instskip(NEXT) | instid1(VALU_DEP_1)
	v_sub_nc_u16 v0, v0, v1
	v_and_b32_e32 v4, 0xff, v0
.LBB124_9:
	s_ashr_i32 s13, s12, 31
	v_mov_b32_e32 v2, 0
	s_lshl_b64 s[4:5], s[12:13], 2
	v_mov_b32_e32 v3, 0
	s_add_u32 s0, s0, s4
	s_addc_u32 s1, s1, s5
	v_mov_b32_e32 v0, v2
	s_load_b64 s[10:11], s[0:1], 0x0
	s_load_b64 s[8:9], s[2:3], 0x50
	v_mov_b32_e32 v1, v3
	s_waitcnt lgkmcnt(0)
	s_cmp_ge_i32 s10, s11
	s_cbranch_scc1 .LBB124_14
; %bb.10:
	s_clause 0x1
	s_load_b128 s[4:7], s[2:3], 0x20
	s_load_b64 s[0:1], s[2:3], 0x38
	s_waitcnt vmcnt(0)
	v_mad_u64_u32 v[0:1], null, 0x4b, s10, v[8:9]
	v_mov_b32_e32 v2, 0
	v_mul_u32_u24_e32 v1, 0x36a, v5
	v_dual_mov_b32 v3, 0 :: v_dual_mov_b32 v6, 0
	s_mul_i32 s2, s14, 0x4b
	s_sub_i32 s3, s10, s14
	s_delay_alu instid0(VALU_DEP_2)
	v_lshrrev_b32_e32 v19, 16, v1
	v_subrev_nc_u32_e32 v5, s2, v0
	v_dual_mov_b32 v0, v2 :: v_dual_mov_b32 v1, v3
	s_sub_i32 s2, s11, s14
	s_set_inst_prefetch_distance 0x1
	s_branch .LBB124_12
	.p2align	6
.LBB124_11:                             ;   in Loop: Header=BB124_12 Depth=1
	s_or_b32 exec_lo, exec_lo, s10
	v_add_nc_u32_e32 v5, 0x4b, v5
	s_add_i32 s3, s3, 1
	s_delay_alu instid0(SALU_CYCLE_1)
	s_cmp_ge_i32 s3, s2
	s_cbranch_scc1 .LBB124_14
.LBB124_12:                             ; =>This Inner Loop Header: Depth=1
	v_add_nc_u32_e32 v17, s3, v19
	s_mov_b32 s10, exec_lo
	s_delay_alu instid0(VALU_DEP_1)
	v_cmpx_gt_i32_e64 s2, v17
	s_cbranch_execz .LBB124_11
; %bb.13:                               ;   in Loop: Header=BB124_12 Depth=1
	v_ashrrev_i32_e32 v18, 31, v17
	s_delay_alu instid0(VALU_DEP_1) | instskip(SKIP_1) | instid1(VALU_DEP_1)
	v_lshlrev_b64 v[17:18], 2, v[17:18]
	s_waitcnt lgkmcnt(0)
	v_add_co_u32 v17, vcc_lo, s4, v17
	s_delay_alu instid0(VALU_DEP_2) | instskip(SKIP_3) | instid1(VALU_DEP_1)
	v_add_co_ci_u32_e32 v18, vcc_lo, s5, v18, vcc_lo
	global_load_b32 v17, v[17:18], off
	s_waitcnt vmcnt(0)
	v_subrev_nc_u32_e32 v20, s14, v17
	v_mad_u64_u32 v[17:18], null, v20, 5, v[4:5]
	v_lshlrev_b64 v[20:21], 4, v[5:6]
	s_delay_alu instid0(VALU_DEP_1) | instskip(NEXT) | instid1(VALU_DEP_3)
	v_add_co_u32 v20, vcc_lo, s6, v20
	v_ashrrev_i32_e32 v18, 31, v17
	s_delay_alu instid0(VALU_DEP_3) | instskip(NEXT) | instid1(VALU_DEP_2)
	v_add_co_ci_u32_e32 v21, vcc_lo, s7, v21, vcc_lo
	v_lshlrev_b64 v[17:18], 4, v[17:18]
	s_delay_alu instid0(VALU_DEP_1) | instskip(NEXT) | instid1(VALU_DEP_2)
	v_add_co_u32 v17, vcc_lo, s0, v17
	v_add_co_ci_u32_e32 v18, vcc_lo, s1, v18, vcc_lo
	global_load_b128 v[20:23], v[20:21], off
	global_load_b128 v[24:27], v[17:18], off
	s_waitcnt vmcnt(0)
	v_fma_f64 v[0:1], v[20:21], v[24:25], v[0:1]
	v_fma_f64 v[2:3], v[22:23], v[24:25], v[2:3]
	s_delay_alu instid0(VALU_DEP_2) | instskip(NEXT) | instid1(VALU_DEP_2)
	v_fma_f64 v[0:1], -v[22:23], v[26:27], v[0:1]
	v_fma_f64 v[2:3], v[20:21], v[26:27], v[2:3]
	s_branch .LBB124_11
.LBB124_14:
	s_set_inst_prefetch_distance 0x2
	v_lshlrev_b32_e32 v17, 4, v8
	s_and_b32 vcc_lo, exec_lo, s15
	ds_store_b128 v17, v[0:3]
	s_waitcnt vmcnt(0) lgkmcnt(0)
	s_barrier
	buffer_gl0_inv
	s_cbranch_vccz .LBB124_24
; %bb.15:
	v_cmp_eq_u16_e32 vcc_lo, 0, v7
	s_and_saveexec_b32 s0, vcc_lo
	s_cbranch_execz .LBB124_17
; %bb.16:
	ds_load_b128 v[18:21], v17 offset:64
	ds_load_b128 v[22:25], v17
	s_waitcnt lgkmcnt(0)
	v_add_f64 v[18:19], v[18:19], v[22:23]
	v_add_f64 v[20:21], v[20:21], v[24:25]
	ds_store_b128 v17, v[18:21]
.LBB124_17:
	s_or_b32 exec_lo, exec_lo, s0
	s_delay_alu instid0(SALU_CYCLE_1)
	s_mov_b32 s1, exec_lo
	s_waitcnt lgkmcnt(0)
	s_barrier
	buffer_gl0_inv
	v_cmpx_gt_u16_e32 2, v7
	s_cbranch_execz .LBB124_19
; %bb.18:
	ds_load_b128 v[4:7], v17
	ds_load_b128 v[18:21], v17 offset:32
	s_waitcnt lgkmcnt(0)
	v_add_f64 v[4:5], v[18:19], v[4:5]
	v_add_f64 v[6:7], v[20:21], v[6:7]
	ds_store_b128 v17, v[4:7]
.LBB124_19:
	s_or_b32 exec_lo, exec_lo, s1
	s_waitcnt lgkmcnt(0)
	s_barrier
	buffer_gl0_inv
	s_and_saveexec_b32 s0, vcc_lo
	s_cbranch_execz .LBB124_21
; %bb.20:
	ds_load_b128 v[4:7], v17
	ds_load_b128 v[18:21], v17 offset:16
	s_waitcnt lgkmcnt(0)
	v_add_f64 v[4:5], v[18:19], v[4:5]
	v_add_f64 v[6:7], v[20:21], v[6:7]
	ds_store_b128 v17, v[4:7]
.LBB124_21:
	s_or_b32 exec_lo, exec_lo, s0
	v_dual_mov_b32 v7, v3 :: v_dual_mov_b32 v6, v2
	v_dual_mov_b32 v5, v1 :: v_dual_mov_b32 v4, v0
	s_mov_b32 s0, exec_lo
	s_waitcnt lgkmcnt(0)
	s_barrier
	buffer_gl0_inv
	v_cmpx_gt_u32_e32 15, v8
	s_cbranch_execz .LBB124_23
; %bb.22:
	v_lshl_add_u32 v4, v8, 6, v17
	ds_load_b128 v[4:7], v4
.LBB124_23:
	s_or_b32 exec_lo, exec_lo, s0
	v_cmp_gt_u32_e64 s0, 15, v8
	s_branch .LBB124_34
.LBB124_24:
                                        ; implicit-def: $vgpr6_vgpr7
	v_cmp_gt_u32_e64 s0, 15, v8
	s_cbranch_execz .LBB124_34
; %bb.25:
	v_cmp_lt_u32_e32 vcc_lo, 14, v8
	s_delay_alu instid0(VALU_DEP_2)
	s_and_saveexec_b32 s1, s0
	s_cbranch_execz .LBB124_27
; %bb.26:
	s_waitcnt lgkmcnt(0)
	ds_load_b128 v[4:7], v17 offset:960
	ds_load_b128 v[18:21], v17
	s_waitcnt lgkmcnt(0)
	v_add_f64 v[4:5], v[4:5], v[18:19]
	v_add_f64 v[6:7], v[6:7], v[20:21]
	ds_store_b128 v17, v[4:7]
.LBB124_27:
	s_or_b32 exec_lo, exec_lo, s1
	s_delay_alu instid0(SALU_CYCLE_1)
	s_mov_b32 s1, exec_lo
	s_waitcnt lgkmcnt(0)
	s_barrier
	buffer_gl0_inv
	v_cmpx_gt_u32_e32 30, v8
	s_cbranch_execz .LBB124_29
; %bb.28:
	ds_load_b128 v[4:7], v17 offset:480
	ds_load_b128 v[18:21], v17
	s_waitcnt lgkmcnt(0)
	v_add_f64 v[4:5], v[4:5], v[18:19]
	v_add_f64 v[6:7], v[6:7], v[20:21]
	ds_store_b128 v17, v[4:7]
.LBB124_29:
	s_or_b32 exec_lo, exec_lo, s1
	s_waitcnt lgkmcnt(0)
	buffer_gl0_inv
	s_and_saveexec_b32 s0, vcc_lo
	s_delay_alu instid0(SALU_CYCLE_1)
	s_xor_b32 s0, exec_lo, s0
	s_cbranch_execz .LBB124_31
; %bb.30:
	buffer_gl0_inv
                                        ; implicit-def: $vgpr17
.LBB124_31:
	s_and_not1_saveexec_b32 s0, s0
	s_cbranch_execz .LBB124_33
; %bb.32:
	ds_load_b128 v[0:3], v17 offset:240
	ds_load_b128 v[4:7], v17
	s_waitcnt lgkmcnt(0)
	v_add_f64 v[0:1], v[0:1], v[4:5]
	v_add_f64 v[2:3], v[2:3], v[6:7]
	ds_store_b128 v17, v[0:3]
	s_waitcnt lgkmcnt(0)
	buffer_gl0_inv
	ds_load_b128 v[0:3], v17
.LBB124_33:
	s_or_b32 exec_lo, exec_lo, s0
	s_waitcnt lgkmcnt(0)
	v_dual_mov_b32 v7, v3 :: v_dual_mov_b32 v6, v2
	v_dual_mov_b32 v5, v1 :: v_dual_mov_b32 v4, v0
.LBB124_34:
	v_cmp_gt_u32_e32 vcc_lo, 15, v8
	s_and_b32 exec_lo, exec_lo, vcc_lo
	s_cbranch_execz .LBB124_39
; %bb.35:
	s_waitcnt lgkmcnt(0)
	v_mul_f64 v[0:1], v[6:7], -v[15:16]
	v_mul_f64 v[2:3], v[13:14], v[6:7]
	v_cmp_eq_f64_e32 vcc_lo, 0, v[9:10]
	v_cmp_eq_f64_e64 s0, 0, v[11:12]
	s_delay_alu instid0(VALU_DEP_4) | instskip(NEXT) | instid1(VALU_DEP_4)
	v_fma_f64 v[0:1], v[13:14], v[4:5], v[0:1]
	v_fma_f64 v[2:3], v[15:16], v[4:5], v[2:3]
	s_delay_alu instid0(VALU_DEP_3) | instskip(NEXT) | instid1(SALU_CYCLE_1)
	s_and_b32 s0, vcc_lo, s0
	s_and_saveexec_b32 s1, s0
	s_delay_alu instid0(SALU_CYCLE_1)
	s_xor_b32 s0, exec_lo, s1
	s_cbranch_execz .LBB124_37
; %bb.36:
	v_mad_u64_u32 v[4:5], null, s12, 15, v[8:9]
	v_mov_b32_e32 v5, 0
                                        ; implicit-def: $vgpr8
                                        ; implicit-def: $vgpr9_vgpr10
                                        ; implicit-def: $vgpr11_vgpr12
	s_delay_alu instid0(VALU_DEP_1) | instskip(NEXT) | instid1(VALU_DEP_1)
	v_lshlrev_b64 v[4:5], 4, v[4:5]
	v_add_co_u32 v4, vcc_lo, s8, v4
	s_delay_alu instid0(VALU_DEP_2)
	v_add_co_ci_u32_e32 v5, vcc_lo, s9, v5, vcc_lo
	global_store_b128 v[4:5], v[0:3], off
                                        ; implicit-def: $vgpr0_vgpr1
.LBB124_37:
	s_and_not1_saveexec_b32 s0, s0
	s_cbranch_execz .LBB124_39
; %bb.38:
	v_mad_u64_u32 v[4:5], null, s12, 15, v[8:9]
	v_mov_b32_e32 v5, 0
	s_delay_alu instid0(VALU_DEP_1) | instskip(NEXT) | instid1(VALU_DEP_1)
	v_lshlrev_b64 v[4:5], 4, v[4:5]
	v_add_co_u32 v13, vcc_lo, s8, v4
	s_delay_alu instid0(VALU_DEP_2) | instskip(SKIP_4) | instid1(VALU_DEP_2)
	v_add_co_ci_u32_e32 v14, vcc_lo, s9, v5, vcc_lo
	global_load_b128 v[4:7], v[13:14], off
	s_waitcnt vmcnt(0)
	v_fma_f64 v[0:1], v[9:10], v[4:5], v[0:1]
	v_fma_f64 v[2:3], v[11:12], v[4:5], v[2:3]
	v_fma_f64 v[0:1], -v[11:12], v[6:7], v[0:1]
	s_delay_alu instid0(VALU_DEP_2)
	v_fma_f64 v[2:3], v[9:10], v[6:7], v[2:3]
	global_store_b128 v[13:14], v[0:3], off
.LBB124_39:
	s_nop 0
	s_sendmsg sendmsg(MSG_DEALLOC_VGPRS)
	s_endpgm
	.section	.rodata,"a",@progbits
	.p2align	6, 0x0
	.amdhsa_kernel _ZN9rocsparseL22gebsrmvn_mxn_16_kernelILj75ELj15ELj5E21rocsparse_complex_numIdEEEvi20rocsparse_direction_NS_24const_host_device_scalarIT2_EEPKiS8_PKS5_iiSA_S6_PS5_21rocsparse_index_base_b
		.amdhsa_group_segment_fixed_size 2400
		.amdhsa_private_segment_fixed_size 0
		.amdhsa_kernarg_size 96
		.amdhsa_user_sgpr_count 15
		.amdhsa_user_sgpr_dispatch_ptr 1
		.amdhsa_user_sgpr_queue_ptr 0
		.amdhsa_user_sgpr_kernarg_segment_ptr 1
		.amdhsa_user_sgpr_dispatch_id 0
		.amdhsa_user_sgpr_private_segment_size 0
		.amdhsa_wavefront_size32 1
		.amdhsa_uses_dynamic_stack 0
		.amdhsa_enable_private_segment 0
		.amdhsa_system_sgpr_workgroup_id_x 1
		.amdhsa_system_sgpr_workgroup_id_y 0
		.amdhsa_system_sgpr_workgroup_id_z 0
		.amdhsa_system_sgpr_workgroup_info 0
		.amdhsa_system_vgpr_workitem_id 2
		.amdhsa_next_free_vgpr 28
		.amdhsa_next_free_sgpr 18
		.amdhsa_reserve_vcc 1
		.amdhsa_float_round_mode_32 0
		.amdhsa_float_round_mode_16_64 0
		.amdhsa_float_denorm_mode_32 3
		.amdhsa_float_denorm_mode_16_64 3
		.amdhsa_dx10_clamp 1
		.amdhsa_ieee_mode 1
		.amdhsa_fp16_overflow 0
		.amdhsa_workgroup_processor_mode 1
		.amdhsa_memory_ordered 1
		.amdhsa_forward_progress 0
		.amdhsa_shared_vgpr_count 0
		.amdhsa_exception_fp_ieee_invalid_op 0
		.amdhsa_exception_fp_denorm_src 0
		.amdhsa_exception_fp_ieee_div_zero 0
		.amdhsa_exception_fp_ieee_overflow 0
		.amdhsa_exception_fp_ieee_underflow 0
		.amdhsa_exception_fp_ieee_inexact 0
		.amdhsa_exception_int_div_zero 0
	.end_amdhsa_kernel
	.section	.text._ZN9rocsparseL22gebsrmvn_mxn_16_kernelILj75ELj15ELj5E21rocsparse_complex_numIdEEEvi20rocsparse_direction_NS_24const_host_device_scalarIT2_EEPKiS8_PKS5_iiSA_S6_PS5_21rocsparse_index_base_b,"axG",@progbits,_ZN9rocsparseL22gebsrmvn_mxn_16_kernelILj75ELj15ELj5E21rocsparse_complex_numIdEEEvi20rocsparse_direction_NS_24const_host_device_scalarIT2_EEPKiS8_PKS5_iiSA_S6_PS5_21rocsparse_index_base_b,comdat
.Lfunc_end124:
	.size	_ZN9rocsparseL22gebsrmvn_mxn_16_kernelILj75ELj15ELj5E21rocsparse_complex_numIdEEEvi20rocsparse_direction_NS_24const_host_device_scalarIT2_EEPKiS8_PKS5_iiSA_S6_PS5_21rocsparse_index_base_b, .Lfunc_end124-_ZN9rocsparseL22gebsrmvn_mxn_16_kernelILj75ELj15ELj5E21rocsparse_complex_numIdEEEvi20rocsparse_direction_NS_24const_host_device_scalarIT2_EEPKiS8_PKS5_iiSA_S6_PS5_21rocsparse_index_base_b
                                        ; -- End function
	.section	.AMDGPU.csdata,"",@progbits
; Kernel info:
; codeLenInByte = 1764
; NumSgprs: 20
; NumVgprs: 28
; ScratchSize: 0
; MemoryBound: 0
; FloatMode: 240
; IeeeMode: 1
; LDSByteSize: 2400 bytes/workgroup (compile time only)
; SGPRBlocks: 2
; VGPRBlocks: 3
; NumSGPRsForWavesPerEU: 20
; NumVGPRsForWavesPerEU: 28
; Occupancy: 16
; WaveLimiterHint : 1
; COMPUTE_PGM_RSRC2:SCRATCH_EN: 0
; COMPUTE_PGM_RSRC2:USER_SGPR: 15
; COMPUTE_PGM_RSRC2:TRAP_HANDLER: 0
; COMPUTE_PGM_RSRC2:TGID_X_EN: 1
; COMPUTE_PGM_RSRC2:TGID_Y_EN: 0
; COMPUTE_PGM_RSRC2:TGID_Z_EN: 0
; COMPUTE_PGM_RSRC2:TIDIG_COMP_CNT: 2
	.section	.text._ZN9rocsparseL22gebsrmvn_mxn_16_kernelILj90ELj15ELj6E21rocsparse_complex_numIdEEEvi20rocsparse_direction_NS_24const_host_device_scalarIT2_EEPKiS8_PKS5_iiSA_S6_PS5_21rocsparse_index_base_b,"axG",@progbits,_ZN9rocsparseL22gebsrmvn_mxn_16_kernelILj90ELj15ELj6E21rocsparse_complex_numIdEEEvi20rocsparse_direction_NS_24const_host_device_scalarIT2_EEPKiS8_PKS5_iiSA_S6_PS5_21rocsparse_index_base_b,comdat
	.globl	_ZN9rocsparseL22gebsrmvn_mxn_16_kernelILj90ELj15ELj6E21rocsparse_complex_numIdEEEvi20rocsparse_direction_NS_24const_host_device_scalarIT2_EEPKiS8_PKS5_iiSA_S6_PS5_21rocsparse_index_base_b ; -- Begin function _ZN9rocsparseL22gebsrmvn_mxn_16_kernelILj90ELj15ELj6E21rocsparse_complex_numIdEEEvi20rocsparse_direction_NS_24const_host_device_scalarIT2_EEPKiS8_PKS5_iiSA_S6_PS5_21rocsparse_index_base_b
	.p2align	8
	.type	_ZN9rocsparseL22gebsrmvn_mxn_16_kernelILj90ELj15ELj6E21rocsparse_complex_numIdEEEvi20rocsparse_direction_NS_24const_host_device_scalarIT2_EEPKiS8_PKS5_iiSA_S6_PS5_21rocsparse_index_base_b,@function
_ZN9rocsparseL22gebsrmvn_mxn_16_kernelILj90ELj15ELj6E21rocsparse_complex_numIdEEEvi20rocsparse_direction_NS_24const_host_device_scalarIT2_EEPKiS8_PKS5_iiSA_S6_PS5_21rocsparse_index_base_b: ; @_ZN9rocsparseL22gebsrmvn_mxn_16_kernelILj90ELj15ELj6E21rocsparse_complex_numIdEEEvi20rocsparse_direction_NS_24const_host_device_scalarIT2_EEPKiS8_PKS5_iiSA_S6_PS5_21rocsparse_index_base_b
; %bb.0:
	s_mov_b32 s12, s15
	s_load_b64 s[14:15], s[2:3], 0x58
	s_load_b64 s[16:17], s[0:1], 0x4
	s_load_b128 s[8:11], s[2:3], 0x8
	v_bfe_u32 v1, v0, 10, 10
	s_mov_b64 s[0:1], src_shared_base
	s_load_b128 s[4:7], s[2:3], 0x40
	v_and_b32_e32 v8, 0x3ff, v0
	v_bfe_u32 v0, v0, 20, 10
	s_waitcnt lgkmcnt(0)
	s_bitcmp1_b32 s15, 0
	v_mul_u32_u24_e32 v1, s17, v1
	s_cselect_b32 s0, -1, 0
	v_mov_b32_e32 v16, s11
	s_and_b32 vcc_lo, s0, exec_lo
	s_cselect_b32 s13, s1, s9
	s_lshr_b32 s15, s16, 16
	v_dual_mov_b32 v2, s4 :: v_dual_mov_b32 v5, s13
	s_mul_i32 s15, s15, s17
	v_mov_b32_e32 v3, s5
	v_mad_u32_u24 v1, s15, v8, v1
	v_mov_b32_e32 v15, s10
	s_xor_b32 s10, s0, -1
	s_delay_alu instid0(VALU_DEP_2) | instskip(SKIP_1) | instid1(VALU_DEP_2)
	v_add_lshl_u32 v6, v1, v0, 3
	v_dual_mov_b32 v0, s8 :: v_dual_mov_b32 v1, s9
	v_add_nc_u32_e32 v7, 0x400, v6
	v_add_nc_u32_e32 v4, 0x870, v6
	ds_store_2addr_b64 v7, v[2:3], v[0:1] offset0:52 offset1:142
	v_cndmask_b32_e64 v4, s8, v4, s0
	v_add_nc_u32_e32 v0, 0x5a0, v6
	flat_load_b64 v[13:14], v[4:5]
	s_cbranch_vccnz .LBB125_2
; %bb.1:
	v_dual_mov_b32 v1, s8 :: v_dual_mov_b32 v2, s9
	flat_load_b64 v[15:16], v[1:2] offset:8
.LBB125_2:
	s_and_b32 s8, s0, exec_lo
	s_cselect_b32 s1, s1, s5
	v_cndmask_b32_e64 v0, s4, v0, s0
	v_dual_mov_b32 v1, s1 :: v_dual_mov_b32 v12, s7
	v_mov_b32_e32 v11, s6
	s_and_not1_b32 vcc_lo, exec_lo, s10
	flat_load_b64 v[9:10], v[0:1]
	s_cbranch_vccnz .LBB125_4
; %bb.3:
	v_dual_mov_b32 v0, s4 :: v_dual_mov_b32 v1, s5
	flat_load_b64 v[11:12], v[0:1] offset:8
.LBB125_4:
	s_waitcnt vmcnt(1) lgkmcnt(1)
	v_cmp_eq_f64_e32 vcc_lo, 0, v[13:14]
	v_cmp_eq_f64_e64 s0, 0, v[15:16]
	s_delay_alu instid0(VALU_DEP_1)
	s_and_b32 s4, vcc_lo, s0
	s_mov_b32 s0, -1
	s_and_saveexec_b32 s1, s4
	s_cbranch_execz .LBB125_6
; %bb.5:
	s_waitcnt vmcnt(0) lgkmcnt(0)
	v_cmp_neq_f64_e32 vcc_lo, 1.0, v[9:10]
	v_cmp_neq_f64_e64 s0, 0, v[11:12]
	s_delay_alu instid0(VALU_DEP_1) | instskip(NEXT) | instid1(SALU_CYCLE_1)
	s_or_b32 s0, vcc_lo, s0
	s_or_not1_b32 s0, s0, exec_lo
.LBB125_6:
	s_or_b32 exec_lo, exec_lo, s1
	s_and_saveexec_b32 s1, s0
	s_cbranch_execz .LBB125_39
; %bb.7:
	v_mul_u32_u24_e32 v0, 0x2aab, v8
	s_clause 0x1
	s_load_b32 s4, s[2:3], 0x4
	s_load_b64 s[0:1], s[2:3], 0x18
	s_delay_alu instid0(VALU_DEP_1) | instskip(NEXT) | instid1(VALU_DEP_1)
	v_lshrrev_b32_e32 v0, 16, v0
	v_mul_lo_u16 v0, v0, 6
	s_delay_alu instid0(VALU_DEP_1) | instskip(NEXT) | instid1(VALU_DEP_1)
	v_sub_nc_u16 v0, v8, v0
	v_and_b32_e32 v7, 0xffff, v0
	s_waitcnt lgkmcnt(0)
	s_cmp_lg_u32 s4, 1
	v_and_b32_e32 v5, 0xffff, v8
	s_cselect_b32 s15, -1, 0
	v_mov_b32_e32 v4, v7
	s_and_b32 vcc_lo, exec_lo, s15
	s_cbranch_vccnz .LBB125_9
; %bb.8:
	v_mul_u32_u24_e32 v0, 0x1112, v5
	s_delay_alu instid0(VALU_DEP_1) | instskip(NEXT) | instid1(VALU_DEP_1)
	v_lshrrev_b32_e32 v0, 16, v0
	v_mul_lo_u16 v1, v0, 43
	s_delay_alu instid0(VALU_DEP_1) | instskip(NEXT) | instid1(VALU_DEP_1)
	v_lshrrev_b16 v1, 8, v1
	v_mul_lo_u16 v1, v1, 6
	s_delay_alu instid0(VALU_DEP_1) | instskip(NEXT) | instid1(VALU_DEP_1)
	v_sub_nc_u16 v0, v0, v1
	v_and_b32_e32 v4, 0xff, v0
.LBB125_9:
	s_ashr_i32 s13, s12, 31
	v_mov_b32_e32 v2, 0
	s_lshl_b64 s[4:5], s[12:13], 2
	v_mov_b32_e32 v3, 0
	s_add_u32 s0, s0, s4
	s_addc_u32 s1, s1, s5
	v_mov_b32_e32 v0, v2
	s_load_b64 s[10:11], s[0:1], 0x0
	s_load_b64 s[8:9], s[2:3], 0x50
	v_mov_b32_e32 v1, v3
	s_waitcnt lgkmcnt(0)
	s_cmp_ge_i32 s10, s11
	s_cbranch_scc1 .LBB125_14
; %bb.10:
	s_clause 0x1
	s_load_b128 s[4:7], s[2:3], 0x20
	s_load_b64 s[0:1], s[2:3], 0x38
	s_waitcnt vmcnt(0)
	v_mad_u64_u32 v[0:1], null, 0x5a, s10, v[8:9]
	v_mov_b32_e32 v2, 0
	v_mul_u32_u24_e32 v1, 0x2d9, v5
	v_dual_mov_b32 v3, 0 :: v_dual_mov_b32 v6, 0
	s_mul_i32 s2, s14, 0x5a
	s_sub_i32 s3, s10, s14
	s_delay_alu instid0(VALU_DEP_2)
	v_lshrrev_b32_e32 v19, 16, v1
	v_subrev_nc_u32_e32 v5, s2, v0
	v_dual_mov_b32 v0, v2 :: v_dual_mov_b32 v1, v3
	s_sub_i32 s2, s11, s14
	s_set_inst_prefetch_distance 0x1
	s_branch .LBB125_12
	.p2align	6
.LBB125_11:                             ;   in Loop: Header=BB125_12 Depth=1
	s_or_b32 exec_lo, exec_lo, s10
	v_add_nc_u32_e32 v5, 0x5a, v5
	s_add_i32 s3, s3, 1
	s_delay_alu instid0(SALU_CYCLE_1)
	s_cmp_ge_i32 s3, s2
	s_cbranch_scc1 .LBB125_14
.LBB125_12:                             ; =>This Inner Loop Header: Depth=1
	v_add_nc_u32_e32 v17, s3, v19
	s_mov_b32 s10, exec_lo
	s_delay_alu instid0(VALU_DEP_1)
	v_cmpx_gt_i32_e64 s2, v17
	s_cbranch_execz .LBB125_11
; %bb.13:                               ;   in Loop: Header=BB125_12 Depth=1
	v_ashrrev_i32_e32 v18, 31, v17
	s_delay_alu instid0(VALU_DEP_1) | instskip(SKIP_1) | instid1(VALU_DEP_1)
	v_lshlrev_b64 v[17:18], 2, v[17:18]
	s_waitcnt lgkmcnt(0)
	v_add_co_u32 v17, vcc_lo, s4, v17
	s_delay_alu instid0(VALU_DEP_2) | instskip(SKIP_3) | instid1(VALU_DEP_1)
	v_add_co_ci_u32_e32 v18, vcc_lo, s5, v18, vcc_lo
	global_load_b32 v17, v[17:18], off
	s_waitcnt vmcnt(0)
	v_subrev_nc_u32_e32 v20, s14, v17
	v_mad_u64_u32 v[17:18], null, v20, 6, v[4:5]
	v_lshlrev_b64 v[20:21], 4, v[5:6]
	s_delay_alu instid0(VALU_DEP_1) | instskip(NEXT) | instid1(VALU_DEP_3)
	v_add_co_u32 v20, vcc_lo, s6, v20
	v_ashrrev_i32_e32 v18, 31, v17
	s_delay_alu instid0(VALU_DEP_3) | instskip(NEXT) | instid1(VALU_DEP_2)
	v_add_co_ci_u32_e32 v21, vcc_lo, s7, v21, vcc_lo
	v_lshlrev_b64 v[17:18], 4, v[17:18]
	s_delay_alu instid0(VALU_DEP_1) | instskip(NEXT) | instid1(VALU_DEP_2)
	v_add_co_u32 v17, vcc_lo, s0, v17
	v_add_co_ci_u32_e32 v18, vcc_lo, s1, v18, vcc_lo
	global_load_b128 v[20:23], v[20:21], off
	global_load_b128 v[24:27], v[17:18], off
	s_waitcnt vmcnt(0)
	v_fma_f64 v[0:1], v[20:21], v[24:25], v[0:1]
	v_fma_f64 v[2:3], v[22:23], v[24:25], v[2:3]
	s_delay_alu instid0(VALU_DEP_2) | instskip(NEXT) | instid1(VALU_DEP_2)
	v_fma_f64 v[0:1], -v[22:23], v[26:27], v[0:1]
	v_fma_f64 v[2:3], v[20:21], v[26:27], v[2:3]
	s_branch .LBB125_11
.LBB125_14:
	s_set_inst_prefetch_distance 0x2
	v_lshlrev_b32_e32 v17, 4, v8
	s_and_b32 vcc_lo, exec_lo, s15
	ds_store_b128 v17, v[0:3]
	s_waitcnt vmcnt(0) lgkmcnt(0)
	s_barrier
	buffer_gl0_inv
	s_cbranch_vccz .LBB125_24
; %bb.15:
	v_cmp_gt_u16_e32 vcc_lo, 2, v7
	s_and_saveexec_b32 s0, vcc_lo
	s_cbranch_execz .LBB125_17
; %bb.16:
	ds_load_b128 v[18:21], v17 offset:64
	ds_load_b128 v[22:25], v17
	s_waitcnt lgkmcnt(0)
	v_add_f64 v[18:19], v[18:19], v[22:23]
	v_add_f64 v[20:21], v[20:21], v[24:25]
	ds_store_b128 v17, v[18:21]
.LBB125_17:
	s_or_b32 exec_lo, exec_lo, s0
	s_waitcnt lgkmcnt(0)
	s_barrier
	buffer_gl0_inv
	s_and_saveexec_b32 s0, vcc_lo
	s_cbranch_execz .LBB125_19
; %bb.18:
	ds_load_b128 v[18:21], v17
	ds_load_b128 v[22:25], v17 offset:32
	s_waitcnt lgkmcnt(0)
	v_add_f64 v[18:19], v[22:23], v[18:19]
	v_add_f64 v[20:21], v[24:25], v[20:21]
	ds_store_b128 v17, v[18:21]
.LBB125_19:
	s_or_b32 exec_lo, exec_lo, s0
	s_delay_alu instid0(SALU_CYCLE_1)
	s_mov_b32 s0, exec_lo
	s_waitcnt lgkmcnt(0)
	s_barrier
	buffer_gl0_inv
	v_cmpx_eq_u16_e32 0, v7
	s_cbranch_execz .LBB125_21
; %bb.20:
	ds_load_b128 v[4:7], v17
	ds_load_b128 v[18:21], v17 offset:16
	s_waitcnt lgkmcnt(0)
	v_add_f64 v[4:5], v[18:19], v[4:5]
	v_add_f64 v[6:7], v[20:21], v[6:7]
	ds_store_b128 v17, v[4:7]
.LBB125_21:
	s_or_b32 exec_lo, exec_lo, s0
	v_dual_mov_b32 v7, v3 :: v_dual_mov_b32 v6, v2
	v_dual_mov_b32 v5, v1 :: v_dual_mov_b32 v4, v0
	s_mov_b32 s0, exec_lo
	s_waitcnt lgkmcnt(0)
	s_barrier
	buffer_gl0_inv
	v_cmpx_gt_u32_e32 15, v8
	s_cbranch_execz .LBB125_23
; %bb.22:
	v_mad_u32_u24 v4, 0x50, v8, v17
	ds_load_b128 v[4:7], v4
.LBB125_23:
	s_or_b32 exec_lo, exec_lo, s0
	s_branch .LBB125_34
.LBB125_24:
                                        ; implicit-def: $vgpr6_vgpr7
	s_cbranch_execz .LBB125_34
; %bb.25:
	v_cmp_gt_u32_e32 vcc_lo, 30, v8
	s_and_saveexec_b32 s0, vcc_lo
	s_cbranch_execz .LBB125_27
; %bb.26:
	s_waitcnt lgkmcnt(0)
	ds_load_b128 v[4:7], v17 offset:960
	ds_load_b128 v[18:21], v17
	s_waitcnt lgkmcnt(0)
	v_add_f64 v[4:5], v[4:5], v[18:19]
	v_add_f64 v[6:7], v[6:7], v[20:21]
	ds_store_b128 v17, v[4:7]
.LBB125_27:
	s_or_b32 exec_lo, exec_lo, s0
	s_waitcnt lgkmcnt(0)
	s_barrier
	buffer_gl0_inv
	s_and_saveexec_b32 s0, vcc_lo
	s_cbranch_execz .LBB125_29
; %bb.28:
	ds_load_b128 v[4:7], v17 offset:480
	ds_load_b128 v[18:21], v17
	s_waitcnt lgkmcnt(0)
	v_add_f64 v[4:5], v[4:5], v[18:19]
	v_add_f64 v[6:7], v[6:7], v[20:21]
	ds_store_b128 v17, v[4:7]
.LBB125_29:
	s_or_b32 exec_lo, exec_lo, s0
	s_delay_alu instid0(SALU_CYCLE_1)
	s_mov_b32 s0, exec_lo
	s_waitcnt lgkmcnt(0)
	buffer_gl0_inv
	v_cmpx_lt_u32_e32 14, v8
	s_xor_b32 s0, exec_lo, s0
	s_cbranch_execz .LBB125_31
; %bb.30:
	buffer_gl0_inv
                                        ; implicit-def: $vgpr17
.LBB125_31:
	s_and_not1_saveexec_b32 s0, s0
	s_cbranch_execz .LBB125_33
; %bb.32:
	ds_load_b128 v[0:3], v17 offset:240
	ds_load_b128 v[4:7], v17
	s_waitcnt lgkmcnt(0)
	v_add_f64 v[0:1], v[0:1], v[4:5]
	v_add_f64 v[2:3], v[2:3], v[6:7]
	ds_store_b128 v17, v[0:3]
	s_waitcnt lgkmcnt(0)
	buffer_gl0_inv
	ds_load_b128 v[0:3], v17
.LBB125_33:
	s_or_b32 exec_lo, exec_lo, s0
	s_waitcnt lgkmcnt(0)
	v_dual_mov_b32 v7, v3 :: v_dual_mov_b32 v6, v2
	v_dual_mov_b32 v5, v1 :: v_dual_mov_b32 v4, v0
.LBB125_34:
	v_cmp_gt_u32_e32 vcc_lo, 15, v8
	s_and_b32 exec_lo, exec_lo, vcc_lo
	s_cbranch_execz .LBB125_39
; %bb.35:
	s_waitcnt lgkmcnt(0)
	v_mul_f64 v[0:1], v[6:7], -v[15:16]
	v_mul_f64 v[2:3], v[13:14], v[6:7]
	v_cmp_eq_f64_e32 vcc_lo, 0, v[9:10]
	v_cmp_eq_f64_e64 s0, 0, v[11:12]
	s_delay_alu instid0(VALU_DEP_4) | instskip(NEXT) | instid1(VALU_DEP_4)
	v_fma_f64 v[0:1], v[13:14], v[4:5], v[0:1]
	v_fma_f64 v[2:3], v[15:16], v[4:5], v[2:3]
	s_delay_alu instid0(VALU_DEP_3) | instskip(NEXT) | instid1(SALU_CYCLE_1)
	s_and_b32 s0, vcc_lo, s0
	s_and_saveexec_b32 s1, s0
	s_delay_alu instid0(SALU_CYCLE_1)
	s_xor_b32 s0, exec_lo, s1
	s_cbranch_execz .LBB125_37
; %bb.36:
	v_mad_u64_u32 v[4:5], null, s12, 15, v[8:9]
	v_mov_b32_e32 v5, 0
                                        ; implicit-def: $vgpr8
                                        ; implicit-def: $vgpr9_vgpr10
                                        ; implicit-def: $vgpr11_vgpr12
	s_delay_alu instid0(VALU_DEP_1) | instskip(NEXT) | instid1(VALU_DEP_1)
	v_lshlrev_b64 v[4:5], 4, v[4:5]
	v_add_co_u32 v4, vcc_lo, s8, v4
	s_delay_alu instid0(VALU_DEP_2)
	v_add_co_ci_u32_e32 v5, vcc_lo, s9, v5, vcc_lo
	global_store_b128 v[4:5], v[0:3], off
                                        ; implicit-def: $vgpr0_vgpr1
.LBB125_37:
	s_and_not1_saveexec_b32 s0, s0
	s_cbranch_execz .LBB125_39
; %bb.38:
	v_mad_u64_u32 v[4:5], null, s12, 15, v[8:9]
	v_mov_b32_e32 v5, 0
	s_delay_alu instid0(VALU_DEP_1) | instskip(NEXT) | instid1(VALU_DEP_1)
	v_lshlrev_b64 v[4:5], 4, v[4:5]
	v_add_co_u32 v13, vcc_lo, s8, v4
	s_delay_alu instid0(VALU_DEP_2) | instskip(SKIP_4) | instid1(VALU_DEP_2)
	v_add_co_ci_u32_e32 v14, vcc_lo, s9, v5, vcc_lo
	global_load_b128 v[4:7], v[13:14], off
	s_waitcnt vmcnt(0)
	v_fma_f64 v[0:1], v[9:10], v[4:5], v[0:1]
	v_fma_f64 v[2:3], v[11:12], v[4:5], v[2:3]
	v_fma_f64 v[0:1], -v[11:12], v[6:7], v[0:1]
	s_delay_alu instid0(VALU_DEP_2)
	v_fma_f64 v[2:3], v[9:10], v[6:7], v[2:3]
	global_store_b128 v[13:14], v[0:3], off
.LBB125_39:
	s_nop 0
	s_sendmsg sendmsg(MSG_DEALLOC_VGPRS)
	s_endpgm
	.section	.rodata,"a",@progbits
	.p2align	6, 0x0
	.amdhsa_kernel _ZN9rocsparseL22gebsrmvn_mxn_16_kernelILj90ELj15ELj6E21rocsparse_complex_numIdEEEvi20rocsparse_direction_NS_24const_host_device_scalarIT2_EEPKiS8_PKS5_iiSA_S6_PS5_21rocsparse_index_base_b
		.amdhsa_group_segment_fixed_size 2880
		.amdhsa_private_segment_fixed_size 0
		.amdhsa_kernarg_size 96
		.amdhsa_user_sgpr_count 15
		.amdhsa_user_sgpr_dispatch_ptr 1
		.amdhsa_user_sgpr_queue_ptr 0
		.amdhsa_user_sgpr_kernarg_segment_ptr 1
		.amdhsa_user_sgpr_dispatch_id 0
		.amdhsa_user_sgpr_private_segment_size 0
		.amdhsa_wavefront_size32 1
		.amdhsa_uses_dynamic_stack 0
		.amdhsa_enable_private_segment 0
		.amdhsa_system_sgpr_workgroup_id_x 1
		.amdhsa_system_sgpr_workgroup_id_y 0
		.amdhsa_system_sgpr_workgroup_id_z 0
		.amdhsa_system_sgpr_workgroup_info 0
		.amdhsa_system_vgpr_workitem_id 2
		.amdhsa_next_free_vgpr 28
		.amdhsa_next_free_sgpr 18
		.amdhsa_reserve_vcc 1
		.amdhsa_float_round_mode_32 0
		.amdhsa_float_round_mode_16_64 0
		.amdhsa_float_denorm_mode_32 3
		.amdhsa_float_denorm_mode_16_64 3
		.amdhsa_dx10_clamp 1
		.amdhsa_ieee_mode 1
		.amdhsa_fp16_overflow 0
		.amdhsa_workgroup_processor_mode 1
		.amdhsa_memory_ordered 1
		.amdhsa_forward_progress 0
		.amdhsa_shared_vgpr_count 0
		.amdhsa_exception_fp_ieee_invalid_op 0
		.amdhsa_exception_fp_denorm_src 0
		.amdhsa_exception_fp_ieee_div_zero 0
		.amdhsa_exception_fp_ieee_overflow 0
		.amdhsa_exception_fp_ieee_underflow 0
		.amdhsa_exception_fp_ieee_inexact 0
		.amdhsa_exception_int_div_zero 0
	.end_amdhsa_kernel
	.section	.text._ZN9rocsparseL22gebsrmvn_mxn_16_kernelILj90ELj15ELj6E21rocsparse_complex_numIdEEEvi20rocsparse_direction_NS_24const_host_device_scalarIT2_EEPKiS8_PKS5_iiSA_S6_PS5_21rocsparse_index_base_b,"axG",@progbits,_ZN9rocsparseL22gebsrmvn_mxn_16_kernelILj90ELj15ELj6E21rocsparse_complex_numIdEEEvi20rocsparse_direction_NS_24const_host_device_scalarIT2_EEPKiS8_PKS5_iiSA_S6_PS5_21rocsparse_index_base_b,comdat
.Lfunc_end125:
	.size	_ZN9rocsparseL22gebsrmvn_mxn_16_kernelILj90ELj15ELj6E21rocsparse_complex_numIdEEEvi20rocsparse_direction_NS_24const_host_device_scalarIT2_EEPKiS8_PKS5_iiSA_S6_PS5_21rocsparse_index_base_b, .Lfunc_end125-_ZN9rocsparseL22gebsrmvn_mxn_16_kernelILj90ELj15ELj6E21rocsparse_complex_numIdEEEvi20rocsparse_direction_NS_24const_host_device_scalarIT2_EEPKiS8_PKS5_iiSA_S6_PS5_21rocsparse_index_base_b
                                        ; -- End function
	.section	.AMDGPU.csdata,"",@progbits
; Kernel info:
; codeLenInByte = 1752
; NumSgprs: 20
; NumVgprs: 28
; ScratchSize: 0
; MemoryBound: 0
; FloatMode: 240
; IeeeMode: 1
; LDSByteSize: 2880 bytes/workgroup (compile time only)
; SGPRBlocks: 2
; VGPRBlocks: 3
; NumSGPRsForWavesPerEU: 20
; NumVGPRsForWavesPerEU: 28
; Occupancy: 16
; WaveLimiterHint : 1
; COMPUTE_PGM_RSRC2:SCRATCH_EN: 0
; COMPUTE_PGM_RSRC2:USER_SGPR: 15
; COMPUTE_PGM_RSRC2:TRAP_HANDLER: 0
; COMPUTE_PGM_RSRC2:TGID_X_EN: 1
; COMPUTE_PGM_RSRC2:TGID_Y_EN: 0
; COMPUTE_PGM_RSRC2:TGID_Z_EN: 0
; COMPUTE_PGM_RSRC2:TIDIG_COMP_CNT: 2
	.section	.text._ZN9rocsparseL22gebsrmvn_mxn_16_kernelILj105ELj15ELj7E21rocsparse_complex_numIdEEEvi20rocsparse_direction_NS_24const_host_device_scalarIT2_EEPKiS8_PKS5_iiSA_S6_PS5_21rocsparse_index_base_b,"axG",@progbits,_ZN9rocsparseL22gebsrmvn_mxn_16_kernelILj105ELj15ELj7E21rocsparse_complex_numIdEEEvi20rocsparse_direction_NS_24const_host_device_scalarIT2_EEPKiS8_PKS5_iiSA_S6_PS5_21rocsparse_index_base_b,comdat
	.globl	_ZN9rocsparseL22gebsrmvn_mxn_16_kernelILj105ELj15ELj7E21rocsparse_complex_numIdEEEvi20rocsparse_direction_NS_24const_host_device_scalarIT2_EEPKiS8_PKS5_iiSA_S6_PS5_21rocsparse_index_base_b ; -- Begin function _ZN9rocsparseL22gebsrmvn_mxn_16_kernelILj105ELj15ELj7E21rocsparse_complex_numIdEEEvi20rocsparse_direction_NS_24const_host_device_scalarIT2_EEPKiS8_PKS5_iiSA_S6_PS5_21rocsparse_index_base_b
	.p2align	8
	.type	_ZN9rocsparseL22gebsrmvn_mxn_16_kernelILj105ELj15ELj7E21rocsparse_complex_numIdEEEvi20rocsparse_direction_NS_24const_host_device_scalarIT2_EEPKiS8_PKS5_iiSA_S6_PS5_21rocsparse_index_base_b,@function
_ZN9rocsparseL22gebsrmvn_mxn_16_kernelILj105ELj15ELj7E21rocsparse_complex_numIdEEEvi20rocsparse_direction_NS_24const_host_device_scalarIT2_EEPKiS8_PKS5_iiSA_S6_PS5_21rocsparse_index_base_b: ; @_ZN9rocsparseL22gebsrmvn_mxn_16_kernelILj105ELj15ELj7E21rocsparse_complex_numIdEEEvi20rocsparse_direction_NS_24const_host_device_scalarIT2_EEPKiS8_PKS5_iiSA_S6_PS5_21rocsparse_index_base_b
; %bb.0:
	s_mov_b32 s12, s15
	s_load_b64 s[14:15], s[2:3], 0x58
	s_load_b64 s[16:17], s[0:1], 0x4
	s_load_b128 s[8:11], s[2:3], 0x8
	v_bfe_u32 v1, v0, 10, 10
	s_mov_b64 s[0:1], src_shared_base
	s_load_b128 s[4:7], s[2:3], 0x40
	v_and_b32_e32 v8, 0x3ff, v0
	v_bfe_u32 v0, v0, 20, 10
	s_waitcnt lgkmcnt(0)
	s_bitcmp1_b32 s15, 0
	v_mul_u32_u24_e32 v1, s17, v1
	s_cselect_b32 s0, -1, 0
	v_mov_b32_e32 v16, s11
	s_and_b32 vcc_lo, s0, exec_lo
	s_cselect_b32 s13, s1, s9
	s_lshr_b32 s15, s16, 16
	v_dual_mov_b32 v2, s4 :: v_dual_mov_b32 v5, s13
	s_mul_i32 s15, s15, s17
	v_mov_b32_e32 v3, s5
	v_mad_u32_u24 v1, s15, v8, v1
	v_mov_b32_e32 v15, s10
	s_xor_b32 s10, s0, -1
	s_delay_alu instid0(VALU_DEP_2) | instskip(SKIP_1) | instid1(VALU_DEP_2)
	v_add_lshl_u32 v6, v1, v0, 3
	v_dual_mov_b32 v0, s8 :: v_dual_mov_b32 v1, s9
	v_add_nc_u32_e32 v7, 0x400, v6
	v_add_nc_u32_e32 v4, 0x9d8, v6
	ds_store_2addr_b64 v7, v[2:3], v[0:1] offset0:82 offset1:187
	v_cndmask_b32_e64 v4, s8, v4, s0
	v_add_nc_u32_e32 v0, 0x690, v6
	flat_load_b64 v[13:14], v[4:5]
	s_cbranch_vccnz .LBB126_2
; %bb.1:
	v_dual_mov_b32 v1, s8 :: v_dual_mov_b32 v2, s9
	flat_load_b64 v[15:16], v[1:2] offset:8
.LBB126_2:
	s_and_b32 s8, s0, exec_lo
	s_cselect_b32 s1, s1, s5
	v_cndmask_b32_e64 v0, s4, v0, s0
	v_dual_mov_b32 v1, s1 :: v_dual_mov_b32 v12, s7
	v_mov_b32_e32 v11, s6
	s_and_not1_b32 vcc_lo, exec_lo, s10
	flat_load_b64 v[9:10], v[0:1]
	s_cbranch_vccnz .LBB126_4
; %bb.3:
	v_dual_mov_b32 v0, s4 :: v_dual_mov_b32 v1, s5
	flat_load_b64 v[11:12], v[0:1] offset:8
.LBB126_4:
	s_waitcnt vmcnt(1) lgkmcnt(1)
	v_cmp_eq_f64_e32 vcc_lo, 0, v[13:14]
	v_cmp_eq_f64_e64 s0, 0, v[15:16]
	s_delay_alu instid0(VALU_DEP_1)
	s_and_b32 s4, vcc_lo, s0
	s_mov_b32 s0, -1
	s_and_saveexec_b32 s1, s4
	s_cbranch_execz .LBB126_6
; %bb.5:
	s_waitcnt vmcnt(0) lgkmcnt(0)
	v_cmp_neq_f64_e32 vcc_lo, 1.0, v[9:10]
	v_cmp_neq_f64_e64 s0, 0, v[11:12]
	s_delay_alu instid0(VALU_DEP_1) | instskip(NEXT) | instid1(SALU_CYCLE_1)
	s_or_b32 s0, vcc_lo, s0
	s_or_not1_b32 s0, s0, exec_lo
.LBB126_6:
	s_or_b32 exec_lo, exec_lo, s1
	s_and_saveexec_b32 s1, s0
	s_cbranch_execz .LBB126_39
; %bb.7:
	v_mul_u32_u24_e32 v0, 0x2493, v8
	s_clause 0x1
	s_load_b32 s4, s[2:3], 0x4
	s_load_b64 s[0:1], s[2:3], 0x18
	s_delay_alu instid0(VALU_DEP_1) | instskip(NEXT) | instid1(VALU_DEP_1)
	v_lshrrev_b32_e32 v0, 16, v0
	v_mul_lo_u16 v0, v0, 7
	s_delay_alu instid0(VALU_DEP_1) | instskip(NEXT) | instid1(VALU_DEP_1)
	v_sub_nc_u16 v0, v8, v0
	v_and_b32_e32 v7, 0xffff, v0
	s_waitcnt lgkmcnt(0)
	s_cmp_lg_u32 s4, 1
	v_and_b32_e32 v5, 0xffff, v8
	s_cselect_b32 s15, -1, 0
	v_mov_b32_e32 v4, v7
	s_and_b32 vcc_lo, exec_lo, s15
	s_cbranch_vccnz .LBB126_9
; %bb.8:
	v_mul_u32_u24_e32 v0, 0x1112, v5
	s_delay_alu instid0(VALU_DEP_1) | instskip(NEXT) | instid1(VALU_DEP_1)
	v_lshrrev_b32_e32 v0, 16, v0
	v_mul_lo_u16 v1, v0, 37
	s_delay_alu instid0(VALU_DEP_1) | instskip(NEXT) | instid1(VALU_DEP_1)
	v_lshrrev_b16 v1, 8, v1
	v_mul_lo_u16 v1, v1, 7
	s_delay_alu instid0(VALU_DEP_1) | instskip(NEXT) | instid1(VALU_DEP_1)
	v_sub_nc_u16 v0, v0, v1
	v_and_b32_e32 v4, 0xff, v0
.LBB126_9:
	s_ashr_i32 s13, s12, 31
	v_mov_b32_e32 v2, 0
	s_lshl_b64 s[4:5], s[12:13], 2
	v_mov_b32_e32 v3, 0
	s_add_u32 s0, s0, s4
	s_addc_u32 s1, s1, s5
	v_mov_b32_e32 v0, v2
	s_load_b64 s[10:11], s[0:1], 0x0
	s_load_b64 s[8:9], s[2:3], 0x50
	v_mov_b32_e32 v1, v3
	s_waitcnt lgkmcnt(0)
	s_cmp_ge_i32 s10, s11
	s_cbranch_scc1 .LBB126_14
; %bb.10:
	s_clause 0x1
	s_load_b128 s[4:7], s[2:3], 0x20
	s_load_b64 s[0:1], s[2:3], 0x38
	s_waitcnt vmcnt(0)
	v_mad_u64_u32 v[0:1], null, 0x69, s10, v[8:9]
	v_mov_b32_e32 v2, 0
	v_mul_u32_u24_e32 v1, 0x271, v5
	v_dual_mov_b32 v3, 0 :: v_dual_mov_b32 v6, 0
	s_mul_i32 s2, s14, 0x69
	s_sub_i32 s3, s10, s14
	s_delay_alu instid0(VALU_DEP_2)
	v_lshrrev_b32_e32 v19, 16, v1
	v_subrev_nc_u32_e32 v5, s2, v0
	v_dual_mov_b32 v0, v2 :: v_dual_mov_b32 v1, v3
	s_sub_i32 s2, s11, s14
	s_set_inst_prefetch_distance 0x1
	s_branch .LBB126_12
	.p2align	6
.LBB126_11:                             ;   in Loop: Header=BB126_12 Depth=1
	s_or_b32 exec_lo, exec_lo, s10
	v_add_nc_u32_e32 v5, 0x69, v5
	s_add_i32 s3, s3, 1
	s_delay_alu instid0(SALU_CYCLE_1)
	s_cmp_ge_i32 s3, s2
	s_cbranch_scc1 .LBB126_14
.LBB126_12:                             ; =>This Inner Loop Header: Depth=1
	v_add_nc_u32_e32 v17, s3, v19
	s_mov_b32 s10, exec_lo
	s_delay_alu instid0(VALU_DEP_1)
	v_cmpx_gt_i32_e64 s2, v17
	s_cbranch_execz .LBB126_11
; %bb.13:                               ;   in Loop: Header=BB126_12 Depth=1
	v_ashrrev_i32_e32 v18, 31, v17
	s_delay_alu instid0(VALU_DEP_1) | instskip(SKIP_1) | instid1(VALU_DEP_1)
	v_lshlrev_b64 v[17:18], 2, v[17:18]
	s_waitcnt lgkmcnt(0)
	v_add_co_u32 v17, vcc_lo, s4, v17
	s_delay_alu instid0(VALU_DEP_2) | instskip(SKIP_3) | instid1(VALU_DEP_1)
	v_add_co_ci_u32_e32 v18, vcc_lo, s5, v18, vcc_lo
	global_load_b32 v17, v[17:18], off
	s_waitcnt vmcnt(0)
	v_subrev_nc_u32_e32 v20, s14, v17
	v_mad_u64_u32 v[17:18], null, v20, 7, v[4:5]
	v_lshlrev_b64 v[20:21], 4, v[5:6]
	s_delay_alu instid0(VALU_DEP_1) | instskip(NEXT) | instid1(VALU_DEP_3)
	v_add_co_u32 v20, vcc_lo, s6, v20
	v_ashrrev_i32_e32 v18, 31, v17
	s_delay_alu instid0(VALU_DEP_3) | instskip(NEXT) | instid1(VALU_DEP_2)
	v_add_co_ci_u32_e32 v21, vcc_lo, s7, v21, vcc_lo
	v_lshlrev_b64 v[17:18], 4, v[17:18]
	s_delay_alu instid0(VALU_DEP_1) | instskip(NEXT) | instid1(VALU_DEP_2)
	v_add_co_u32 v17, vcc_lo, s0, v17
	v_add_co_ci_u32_e32 v18, vcc_lo, s1, v18, vcc_lo
	global_load_b128 v[20:23], v[20:21], off
	global_load_b128 v[24:27], v[17:18], off
	s_waitcnt vmcnt(0)
	v_fma_f64 v[0:1], v[20:21], v[24:25], v[0:1]
	v_fma_f64 v[2:3], v[22:23], v[24:25], v[2:3]
	s_delay_alu instid0(VALU_DEP_2) | instskip(NEXT) | instid1(VALU_DEP_2)
	v_fma_f64 v[0:1], -v[22:23], v[26:27], v[0:1]
	v_fma_f64 v[2:3], v[20:21], v[26:27], v[2:3]
	s_branch .LBB126_11
.LBB126_14:
	s_set_inst_prefetch_distance 0x2
	v_lshlrev_b32_e32 v17, 4, v8
	s_and_b32 vcc_lo, exec_lo, s15
	ds_store_b128 v17, v[0:3]
	s_waitcnt vmcnt(0) lgkmcnt(0)
	s_barrier
	buffer_gl0_inv
	s_cbranch_vccz .LBB126_24
; %bb.15:
	s_mov_b32 s0, exec_lo
	v_cmpx_gt_u16_e32 3, v7
	s_cbranch_execz .LBB126_17
; %bb.16:
	ds_load_b128 v[18:21], v17 offset:64
	ds_load_b128 v[22:25], v17
	s_waitcnt lgkmcnt(0)
	v_add_f64 v[18:19], v[18:19], v[22:23]
	v_add_f64 v[20:21], v[20:21], v[24:25]
	ds_store_b128 v17, v[18:21]
.LBB126_17:
	s_or_b32 exec_lo, exec_lo, s0
	s_delay_alu instid0(SALU_CYCLE_1)
	s_mov_b32 s0, exec_lo
	s_waitcnt lgkmcnt(0)
	s_barrier
	buffer_gl0_inv
	v_cmpx_gt_u16_e32 2, v7
	s_cbranch_execz .LBB126_19
; %bb.18:
	ds_load_b128 v[18:21], v17
	ds_load_b128 v[22:25], v17 offset:32
	s_waitcnt lgkmcnt(0)
	v_add_f64 v[18:19], v[22:23], v[18:19]
	v_add_f64 v[20:21], v[24:25], v[20:21]
	ds_store_b128 v17, v[18:21]
.LBB126_19:
	s_or_b32 exec_lo, exec_lo, s0
	s_delay_alu instid0(SALU_CYCLE_1)
	s_mov_b32 s0, exec_lo
	s_waitcnt lgkmcnt(0)
	s_barrier
	buffer_gl0_inv
	v_cmpx_eq_u16_e32 0, v7
	s_cbranch_execz .LBB126_21
; %bb.20:
	ds_load_b128 v[4:7], v17
	ds_load_b128 v[18:21], v17 offset:16
	s_waitcnt lgkmcnt(0)
	v_add_f64 v[4:5], v[18:19], v[4:5]
	v_add_f64 v[6:7], v[20:21], v[6:7]
	ds_store_b128 v17, v[4:7]
.LBB126_21:
	s_or_b32 exec_lo, exec_lo, s0
	v_dual_mov_b32 v7, v3 :: v_dual_mov_b32 v6, v2
	v_dual_mov_b32 v5, v1 :: v_dual_mov_b32 v4, v0
	s_mov_b32 s0, exec_lo
	s_waitcnt lgkmcnt(0)
	s_barrier
	buffer_gl0_inv
	v_cmpx_gt_u32_e32 15, v8
	s_cbranch_execz .LBB126_23
; %bb.22:
	v_mad_u32_u24 v4, 0x60, v8, v17
	ds_load_b128 v[4:7], v4
.LBB126_23:
	s_or_b32 exec_lo, exec_lo, s0
	s_branch .LBB126_34
.LBB126_24:
                                        ; implicit-def: $vgpr6_vgpr7
	s_cbranch_execz .LBB126_34
; %bb.25:
	s_mov_b32 s0, exec_lo
	v_cmpx_gt_u32_e32 45, v8
	s_cbranch_execz .LBB126_27
; %bb.26:
	s_waitcnt lgkmcnt(0)
	ds_load_b128 v[4:7], v17 offset:960
	ds_load_b128 v[18:21], v17
	s_waitcnt lgkmcnt(0)
	v_add_f64 v[4:5], v[4:5], v[18:19]
	v_add_f64 v[6:7], v[6:7], v[20:21]
	ds_store_b128 v17, v[4:7]
.LBB126_27:
	s_or_b32 exec_lo, exec_lo, s0
	s_delay_alu instid0(SALU_CYCLE_1)
	s_mov_b32 s0, exec_lo
	s_waitcnt lgkmcnt(0)
	s_barrier
	buffer_gl0_inv
	v_cmpx_gt_u32_e32 30, v8
	s_cbranch_execz .LBB126_29
; %bb.28:
	ds_load_b128 v[4:7], v17 offset:480
	ds_load_b128 v[18:21], v17
	s_waitcnt lgkmcnt(0)
	v_add_f64 v[4:5], v[4:5], v[18:19]
	v_add_f64 v[6:7], v[6:7], v[20:21]
	ds_store_b128 v17, v[4:7]
.LBB126_29:
	s_or_b32 exec_lo, exec_lo, s0
	s_delay_alu instid0(SALU_CYCLE_1)
	s_mov_b32 s0, exec_lo
	s_waitcnt lgkmcnt(0)
	buffer_gl0_inv
	v_cmpx_lt_u32_e32 14, v8
	s_xor_b32 s0, exec_lo, s0
	s_cbranch_execz .LBB126_31
; %bb.30:
	buffer_gl0_inv
                                        ; implicit-def: $vgpr17
.LBB126_31:
	s_and_not1_saveexec_b32 s0, s0
	s_cbranch_execz .LBB126_33
; %bb.32:
	ds_load_b128 v[0:3], v17 offset:240
	ds_load_b128 v[4:7], v17
	s_waitcnt lgkmcnt(0)
	v_add_f64 v[0:1], v[0:1], v[4:5]
	v_add_f64 v[2:3], v[2:3], v[6:7]
	ds_store_b128 v17, v[0:3]
	s_waitcnt lgkmcnt(0)
	buffer_gl0_inv
	ds_load_b128 v[0:3], v17
.LBB126_33:
	s_or_b32 exec_lo, exec_lo, s0
	s_waitcnt lgkmcnt(0)
	v_dual_mov_b32 v7, v3 :: v_dual_mov_b32 v6, v2
	v_dual_mov_b32 v5, v1 :: v_dual_mov_b32 v4, v0
.LBB126_34:
	v_cmp_gt_u32_e32 vcc_lo, 15, v8
	s_and_b32 exec_lo, exec_lo, vcc_lo
	s_cbranch_execz .LBB126_39
; %bb.35:
	s_waitcnt lgkmcnt(0)
	v_mul_f64 v[0:1], v[6:7], -v[15:16]
	v_mul_f64 v[2:3], v[13:14], v[6:7]
	v_cmp_eq_f64_e32 vcc_lo, 0, v[9:10]
	v_cmp_eq_f64_e64 s0, 0, v[11:12]
	s_delay_alu instid0(VALU_DEP_4) | instskip(NEXT) | instid1(VALU_DEP_4)
	v_fma_f64 v[0:1], v[13:14], v[4:5], v[0:1]
	v_fma_f64 v[2:3], v[15:16], v[4:5], v[2:3]
	s_delay_alu instid0(VALU_DEP_3) | instskip(NEXT) | instid1(SALU_CYCLE_1)
	s_and_b32 s0, vcc_lo, s0
	s_and_saveexec_b32 s1, s0
	s_delay_alu instid0(SALU_CYCLE_1)
	s_xor_b32 s0, exec_lo, s1
	s_cbranch_execz .LBB126_37
; %bb.36:
	v_mad_u64_u32 v[4:5], null, s12, 15, v[8:9]
	v_mov_b32_e32 v5, 0
                                        ; implicit-def: $vgpr8
                                        ; implicit-def: $vgpr9_vgpr10
                                        ; implicit-def: $vgpr11_vgpr12
	s_delay_alu instid0(VALU_DEP_1) | instskip(NEXT) | instid1(VALU_DEP_1)
	v_lshlrev_b64 v[4:5], 4, v[4:5]
	v_add_co_u32 v4, vcc_lo, s8, v4
	s_delay_alu instid0(VALU_DEP_2)
	v_add_co_ci_u32_e32 v5, vcc_lo, s9, v5, vcc_lo
	global_store_b128 v[4:5], v[0:3], off
                                        ; implicit-def: $vgpr0_vgpr1
.LBB126_37:
	s_and_not1_saveexec_b32 s0, s0
	s_cbranch_execz .LBB126_39
; %bb.38:
	v_mad_u64_u32 v[4:5], null, s12, 15, v[8:9]
	v_mov_b32_e32 v5, 0
	s_delay_alu instid0(VALU_DEP_1) | instskip(NEXT) | instid1(VALU_DEP_1)
	v_lshlrev_b64 v[4:5], 4, v[4:5]
	v_add_co_u32 v13, vcc_lo, s8, v4
	s_delay_alu instid0(VALU_DEP_2) | instskip(SKIP_4) | instid1(VALU_DEP_2)
	v_add_co_ci_u32_e32 v14, vcc_lo, s9, v5, vcc_lo
	global_load_b128 v[4:7], v[13:14], off
	s_waitcnt vmcnt(0)
	v_fma_f64 v[0:1], v[9:10], v[4:5], v[0:1]
	v_fma_f64 v[2:3], v[11:12], v[4:5], v[2:3]
	v_fma_f64 v[0:1], -v[11:12], v[6:7], v[0:1]
	s_delay_alu instid0(VALU_DEP_2)
	v_fma_f64 v[2:3], v[9:10], v[6:7], v[2:3]
	global_store_b128 v[13:14], v[0:3], off
.LBB126_39:
	s_nop 0
	s_sendmsg sendmsg(MSG_DEALLOC_VGPRS)
	s_endpgm
	.section	.rodata,"a",@progbits
	.p2align	6, 0x0
	.amdhsa_kernel _ZN9rocsparseL22gebsrmvn_mxn_16_kernelILj105ELj15ELj7E21rocsparse_complex_numIdEEEvi20rocsparse_direction_NS_24const_host_device_scalarIT2_EEPKiS8_PKS5_iiSA_S6_PS5_21rocsparse_index_base_b
		.amdhsa_group_segment_fixed_size 3360
		.amdhsa_private_segment_fixed_size 0
		.amdhsa_kernarg_size 96
		.amdhsa_user_sgpr_count 15
		.amdhsa_user_sgpr_dispatch_ptr 1
		.amdhsa_user_sgpr_queue_ptr 0
		.amdhsa_user_sgpr_kernarg_segment_ptr 1
		.amdhsa_user_sgpr_dispatch_id 0
		.amdhsa_user_sgpr_private_segment_size 0
		.amdhsa_wavefront_size32 1
		.amdhsa_uses_dynamic_stack 0
		.amdhsa_enable_private_segment 0
		.amdhsa_system_sgpr_workgroup_id_x 1
		.amdhsa_system_sgpr_workgroup_id_y 0
		.amdhsa_system_sgpr_workgroup_id_z 0
		.amdhsa_system_sgpr_workgroup_info 0
		.amdhsa_system_vgpr_workitem_id 2
		.amdhsa_next_free_vgpr 28
		.amdhsa_next_free_sgpr 18
		.amdhsa_reserve_vcc 1
		.amdhsa_float_round_mode_32 0
		.amdhsa_float_round_mode_16_64 0
		.amdhsa_float_denorm_mode_32 3
		.amdhsa_float_denorm_mode_16_64 3
		.amdhsa_dx10_clamp 1
		.amdhsa_ieee_mode 1
		.amdhsa_fp16_overflow 0
		.amdhsa_workgroup_processor_mode 1
		.amdhsa_memory_ordered 1
		.amdhsa_forward_progress 0
		.amdhsa_shared_vgpr_count 0
		.amdhsa_exception_fp_ieee_invalid_op 0
		.amdhsa_exception_fp_denorm_src 0
		.amdhsa_exception_fp_ieee_div_zero 0
		.amdhsa_exception_fp_ieee_overflow 0
		.amdhsa_exception_fp_ieee_underflow 0
		.amdhsa_exception_fp_ieee_inexact 0
		.amdhsa_exception_int_div_zero 0
	.end_amdhsa_kernel
	.section	.text._ZN9rocsparseL22gebsrmvn_mxn_16_kernelILj105ELj15ELj7E21rocsparse_complex_numIdEEEvi20rocsparse_direction_NS_24const_host_device_scalarIT2_EEPKiS8_PKS5_iiSA_S6_PS5_21rocsparse_index_base_b,"axG",@progbits,_ZN9rocsparseL22gebsrmvn_mxn_16_kernelILj105ELj15ELj7E21rocsparse_complex_numIdEEEvi20rocsparse_direction_NS_24const_host_device_scalarIT2_EEPKiS8_PKS5_iiSA_S6_PS5_21rocsparse_index_base_b,comdat
.Lfunc_end126:
	.size	_ZN9rocsparseL22gebsrmvn_mxn_16_kernelILj105ELj15ELj7E21rocsparse_complex_numIdEEEvi20rocsparse_direction_NS_24const_host_device_scalarIT2_EEPKiS8_PKS5_iiSA_S6_PS5_21rocsparse_index_base_b, .Lfunc_end126-_ZN9rocsparseL22gebsrmvn_mxn_16_kernelILj105ELj15ELj7E21rocsparse_complex_numIdEEEvi20rocsparse_direction_NS_24const_host_device_scalarIT2_EEPKiS8_PKS5_iiSA_S6_PS5_21rocsparse_index_base_b
                                        ; -- End function
	.section	.AMDGPU.csdata,"",@progbits
; Kernel info:
; codeLenInByte = 1768
; NumSgprs: 20
; NumVgprs: 28
; ScratchSize: 0
; MemoryBound: 0
; FloatMode: 240
; IeeeMode: 1
; LDSByteSize: 3360 bytes/workgroup (compile time only)
; SGPRBlocks: 2
; VGPRBlocks: 3
; NumSGPRsForWavesPerEU: 20
; NumVGPRsForWavesPerEU: 28
; Occupancy: 16
; WaveLimiterHint : 1
; COMPUTE_PGM_RSRC2:SCRATCH_EN: 0
; COMPUTE_PGM_RSRC2:USER_SGPR: 15
; COMPUTE_PGM_RSRC2:TRAP_HANDLER: 0
; COMPUTE_PGM_RSRC2:TGID_X_EN: 1
; COMPUTE_PGM_RSRC2:TGID_Y_EN: 0
; COMPUTE_PGM_RSRC2:TGID_Z_EN: 0
; COMPUTE_PGM_RSRC2:TIDIG_COMP_CNT: 2
	.section	.text._ZN9rocsparseL22gebsrmvn_mxn_16_kernelILj120ELj15ELj8E21rocsparse_complex_numIdEEEvi20rocsparse_direction_NS_24const_host_device_scalarIT2_EEPKiS8_PKS5_iiSA_S6_PS5_21rocsparse_index_base_b,"axG",@progbits,_ZN9rocsparseL22gebsrmvn_mxn_16_kernelILj120ELj15ELj8E21rocsparse_complex_numIdEEEvi20rocsparse_direction_NS_24const_host_device_scalarIT2_EEPKiS8_PKS5_iiSA_S6_PS5_21rocsparse_index_base_b,comdat
	.globl	_ZN9rocsparseL22gebsrmvn_mxn_16_kernelILj120ELj15ELj8E21rocsparse_complex_numIdEEEvi20rocsparse_direction_NS_24const_host_device_scalarIT2_EEPKiS8_PKS5_iiSA_S6_PS5_21rocsparse_index_base_b ; -- Begin function _ZN9rocsparseL22gebsrmvn_mxn_16_kernelILj120ELj15ELj8E21rocsparse_complex_numIdEEEvi20rocsparse_direction_NS_24const_host_device_scalarIT2_EEPKiS8_PKS5_iiSA_S6_PS5_21rocsparse_index_base_b
	.p2align	8
	.type	_ZN9rocsparseL22gebsrmvn_mxn_16_kernelILj120ELj15ELj8E21rocsparse_complex_numIdEEEvi20rocsparse_direction_NS_24const_host_device_scalarIT2_EEPKiS8_PKS5_iiSA_S6_PS5_21rocsparse_index_base_b,@function
_ZN9rocsparseL22gebsrmvn_mxn_16_kernelILj120ELj15ELj8E21rocsparse_complex_numIdEEEvi20rocsparse_direction_NS_24const_host_device_scalarIT2_EEPKiS8_PKS5_iiSA_S6_PS5_21rocsparse_index_base_b: ; @_ZN9rocsparseL22gebsrmvn_mxn_16_kernelILj120ELj15ELj8E21rocsparse_complex_numIdEEEvi20rocsparse_direction_NS_24const_host_device_scalarIT2_EEPKiS8_PKS5_iiSA_S6_PS5_21rocsparse_index_base_b
; %bb.0:
	s_mov_b32 s12, s15
	s_load_b64 s[14:15], s[2:3], 0x58
	s_load_b64 s[16:17], s[0:1], 0x4
	s_load_b128 s[8:11], s[2:3], 0x8
	v_bfe_u32 v1, v0, 10, 10
	s_mov_b64 s[0:1], src_shared_base
	s_load_b128 s[4:7], s[2:3], 0x40
	v_and_b32_e32 v8, 0x3ff, v0
	v_bfe_u32 v0, v0, 20, 10
	s_waitcnt lgkmcnt(0)
	s_bitcmp1_b32 s15, 0
	v_mul_u32_u24_e32 v1, s17, v1
	s_cselect_b32 s0, -1, 0
	v_mov_b32_e32 v16, s11
	s_and_b32 vcc_lo, s0, exec_lo
	s_cselect_b32 s13, s1, s9
	s_lshr_b32 s15, s16, 16
	v_dual_mov_b32 v2, s4 :: v_dual_mov_b32 v5, s13
	s_mul_i32 s15, s15, s17
	v_mov_b32_e32 v3, s5
	v_mad_u32_u24 v1, s15, v8, v1
	v_mov_b32_e32 v15, s10
	s_xor_b32 s10, s0, -1
	s_delay_alu instid0(VALU_DEP_2) | instskip(SKIP_1) | instid1(VALU_DEP_2)
	v_add_lshl_u32 v6, v1, v0, 3
	v_dual_mov_b32 v0, s8 :: v_dual_mov_b32 v1, s9
	v_add_nc_u32_e32 v7, 0x400, v6
	v_add_nc_u32_e32 v4, 0xb40, v6
	ds_store_2addr_b64 v7, v[2:3], v[0:1] offset0:112 offset1:232
	v_cndmask_b32_e64 v4, s8, v4, s0
	v_add_nc_u32_e32 v0, 0x780, v6
	flat_load_b64 v[13:14], v[4:5]
	s_cbranch_vccnz .LBB127_2
; %bb.1:
	v_dual_mov_b32 v1, s8 :: v_dual_mov_b32 v2, s9
	flat_load_b64 v[15:16], v[1:2] offset:8
.LBB127_2:
	s_and_b32 s8, s0, exec_lo
	s_cselect_b32 s1, s1, s5
	v_cndmask_b32_e64 v0, s4, v0, s0
	v_dual_mov_b32 v1, s1 :: v_dual_mov_b32 v12, s7
	v_mov_b32_e32 v11, s6
	s_and_not1_b32 vcc_lo, exec_lo, s10
	flat_load_b64 v[9:10], v[0:1]
	s_cbranch_vccnz .LBB127_4
; %bb.3:
	v_dual_mov_b32 v0, s4 :: v_dual_mov_b32 v1, s5
	flat_load_b64 v[11:12], v[0:1] offset:8
.LBB127_4:
	s_waitcnt vmcnt(1) lgkmcnt(1)
	v_cmp_eq_f64_e32 vcc_lo, 0, v[13:14]
	v_cmp_eq_f64_e64 s0, 0, v[15:16]
	s_delay_alu instid0(VALU_DEP_1)
	s_and_b32 s4, vcc_lo, s0
	s_mov_b32 s0, -1
	s_and_saveexec_b32 s1, s4
	s_cbranch_execz .LBB127_6
; %bb.5:
	s_waitcnt vmcnt(0) lgkmcnt(0)
	v_cmp_neq_f64_e32 vcc_lo, 1.0, v[9:10]
	v_cmp_neq_f64_e64 s0, 0, v[11:12]
	s_delay_alu instid0(VALU_DEP_1) | instskip(NEXT) | instid1(SALU_CYCLE_1)
	s_or_b32 s0, vcc_lo, s0
	s_or_not1_b32 s0, s0, exec_lo
.LBB127_6:
	s_or_b32 exec_lo, exec_lo, s1
	s_and_saveexec_b32 s1, s0
	s_cbranch_execz .LBB127_39
; %bb.7:
	s_clause 0x1
	s_load_b32 s4, s[2:3], 0x4
	s_load_b64 s[0:1], s[2:3], 0x18
	v_and_b32_e32 v18, 7, v8
	s_delay_alu instid0(VALU_DEP_1) | instskip(SKIP_3) | instid1(SALU_CYCLE_1)
	v_mov_b32_e32 v17, v18
	s_waitcnt lgkmcnt(0)
	s_cmp_lg_u32 s4, 1
	s_cselect_b32 s15, -1, 0
	s_and_b32 vcc_lo, exec_lo, s15
	s_cbranch_vccnz .LBB127_9
; %bb.8:
	v_mul_u32_u24_e32 v0, 0x1112, v8
	s_delay_alu instid0(VALU_DEP_1)
	v_bfe_u32 v17, v0, 16, 3
.LBB127_9:
	s_ashr_i32 s13, s12, 31
	v_mov_b32_e32 v2, 0
	s_lshl_b64 s[4:5], s[12:13], 2
	v_mov_b32_e32 v3, 0
	s_add_u32 s0, s0, s4
	s_addc_u32 s1, s1, s5
	v_mov_b32_e32 v0, v2
	s_load_b64 s[10:11], s[0:1], 0x0
	s_load_b64 s[8:9], s[2:3], 0x50
	v_mov_b32_e32 v1, v3
	s_waitcnt lgkmcnt(0)
	s_cmp_ge_i32 s10, s11
	s_cbranch_scc1 .LBB127_14
; %bb.10:
	s_clause 0x1
	s_load_b128 s[4:7], s[2:3], 0x20
	s_load_b64 s[0:1], s[2:3], 0x38
	s_waitcnt vmcnt(0)
	v_mad_u64_u32 v[0:1], null, 0x78, s10, v[8:9]
	v_dual_mov_b32 v2, 0 :: v_dual_mov_b32 v5, 0
	v_mul_u32_u24_e32 v1, 0x223, v8
	v_mov_b32_e32 v3, 0
	s_mul_i32 s2, s14, 0x78
	s_sub_i32 s3, s10, s14
	s_delay_alu instid0(VALU_DEP_4)
	v_subrev_nc_u32_e32 v4, s2, v0
	v_lshrrev_b32_e32 v19, 16, v1
	v_dual_mov_b32 v0, v2 :: v_dual_mov_b32 v1, v3
	s_sub_i32 s2, s11, s14
	s_set_inst_prefetch_distance 0x1
	s_branch .LBB127_12
	.p2align	6
.LBB127_11:                             ;   in Loop: Header=BB127_12 Depth=1
	s_or_b32 exec_lo, exec_lo, s10
	v_add_nc_u32_e32 v4, 0x78, v4
	s_add_i32 s3, s3, 1
	s_delay_alu instid0(SALU_CYCLE_1)
	s_cmp_ge_i32 s3, s2
	s_cbranch_scc1 .LBB127_14
.LBB127_12:                             ; =>This Inner Loop Header: Depth=1
	v_add_nc_u32_e32 v6, s3, v19
	s_mov_b32 s10, exec_lo
	s_delay_alu instid0(VALU_DEP_1)
	v_cmpx_gt_i32_e64 s2, v6
	s_cbranch_execz .LBB127_11
; %bb.13:                               ;   in Loop: Header=BB127_12 Depth=1
	v_ashrrev_i32_e32 v7, 31, v6
	v_lshlrev_b64 v[20:21], 4, v[4:5]
	s_delay_alu instid0(VALU_DEP_2) | instskip(SKIP_1) | instid1(VALU_DEP_1)
	v_lshlrev_b64 v[6:7], 2, v[6:7]
	s_waitcnt lgkmcnt(0)
	v_add_co_u32 v6, vcc_lo, s4, v6
	s_delay_alu instid0(VALU_DEP_2) | instskip(NEXT) | instid1(VALU_DEP_4)
	v_add_co_ci_u32_e32 v7, vcc_lo, s5, v7, vcc_lo
	v_add_co_u32 v20, vcc_lo, s6, v20
	v_add_co_ci_u32_e32 v21, vcc_lo, s7, v21, vcc_lo
	global_load_b32 v6, v[6:7], off
	s_waitcnt vmcnt(0)
	v_subrev_nc_u32_e32 v6, s14, v6
	s_delay_alu instid0(VALU_DEP_1) | instskip(NEXT) | instid1(VALU_DEP_1)
	v_lshl_or_b32 v6, v6, 3, v17
	v_ashrrev_i32_e32 v7, 31, v6
	s_delay_alu instid0(VALU_DEP_1) | instskip(NEXT) | instid1(VALU_DEP_1)
	v_lshlrev_b64 v[6:7], 4, v[6:7]
	v_add_co_u32 v6, vcc_lo, s0, v6
	s_delay_alu instid0(VALU_DEP_2)
	v_add_co_ci_u32_e32 v7, vcc_lo, s1, v7, vcc_lo
	global_load_b128 v[20:23], v[20:21], off
	global_load_b128 v[24:27], v[6:7], off
	s_waitcnt vmcnt(0)
	v_fma_f64 v[0:1], v[20:21], v[24:25], v[0:1]
	v_fma_f64 v[2:3], v[22:23], v[24:25], v[2:3]
	s_delay_alu instid0(VALU_DEP_2) | instskip(NEXT) | instid1(VALU_DEP_2)
	v_fma_f64 v[0:1], -v[22:23], v[26:27], v[0:1]
	v_fma_f64 v[2:3], v[20:21], v[26:27], v[2:3]
	s_branch .LBB127_11
.LBB127_14:
	s_set_inst_prefetch_distance 0x2
	v_lshlrev_b32_e32 v17, 4, v8
	s_and_b32 vcc_lo, exec_lo, s15
	ds_store_b128 v17, v[0:3]
	s_waitcnt vmcnt(0) lgkmcnt(0)
	s_barrier
	buffer_gl0_inv
	s_cbranch_vccz .LBB127_24
; %bb.15:
	s_mov_b32 s0, exec_lo
	v_cmpx_gt_u32_e32 4, v18
	s_cbranch_execz .LBB127_17
; %bb.16:
	ds_load_b128 v[4:7], v17 offset:64
	ds_load_b128 v[19:22], v17
	s_waitcnt lgkmcnt(0)
	v_add_f64 v[4:5], v[4:5], v[19:20]
	v_add_f64 v[6:7], v[6:7], v[21:22]
	ds_store_b128 v17, v[4:7]
.LBB127_17:
	s_or_b32 exec_lo, exec_lo, s0
	s_delay_alu instid0(SALU_CYCLE_1)
	s_mov_b32 s0, exec_lo
	s_waitcnt lgkmcnt(0)
	s_barrier
	buffer_gl0_inv
	v_cmpx_gt_u32_e32 2, v18
	s_cbranch_execz .LBB127_19
; %bb.18:
	ds_load_b128 v[4:7], v17
	ds_load_b128 v[19:22], v17 offset:32
	s_waitcnt lgkmcnt(0)
	v_add_f64 v[4:5], v[19:20], v[4:5]
	v_add_f64 v[6:7], v[21:22], v[6:7]
	ds_store_b128 v17, v[4:7]
.LBB127_19:
	s_or_b32 exec_lo, exec_lo, s0
	s_delay_alu instid0(SALU_CYCLE_1)
	s_mov_b32 s0, exec_lo
	s_waitcnt lgkmcnt(0)
	s_barrier
	buffer_gl0_inv
	v_cmpx_eq_u32_e32 0, v18
	s_cbranch_execz .LBB127_21
; %bb.20:
	ds_load_b128 v[4:7], v17
	ds_load_b128 v[18:21], v17 offset:16
	s_waitcnt lgkmcnt(0)
	v_add_f64 v[4:5], v[18:19], v[4:5]
	v_add_f64 v[6:7], v[20:21], v[6:7]
	ds_store_b128 v17, v[4:7]
.LBB127_21:
	s_or_b32 exec_lo, exec_lo, s0
	v_dual_mov_b32 v7, v3 :: v_dual_mov_b32 v6, v2
	v_dual_mov_b32 v5, v1 :: v_dual_mov_b32 v4, v0
	s_mov_b32 s0, exec_lo
	s_waitcnt lgkmcnt(0)
	s_barrier
	buffer_gl0_inv
	v_cmpx_gt_u32_e32 15, v8
	s_cbranch_execz .LBB127_23
; %bb.22:
	v_mad_u32_u24 v4, 0x70, v8, v17
	ds_load_b128 v[4:7], v4
.LBB127_23:
	s_or_b32 exec_lo, exec_lo, s0
	s_branch .LBB127_34
.LBB127_24:
                                        ; implicit-def: $vgpr6_vgpr7
	s_cbranch_execz .LBB127_34
; %bb.25:
	s_mov_b32 s0, exec_lo
	v_cmpx_gt_u32_e32 60, v8
	s_cbranch_execz .LBB127_27
; %bb.26:
	s_waitcnt lgkmcnt(0)
	ds_load_b128 v[4:7], v17 offset:960
	ds_load_b128 v[18:21], v17
	s_waitcnt lgkmcnt(0)
	v_add_f64 v[4:5], v[4:5], v[18:19]
	v_add_f64 v[6:7], v[6:7], v[20:21]
	ds_store_b128 v17, v[4:7]
.LBB127_27:
	s_or_b32 exec_lo, exec_lo, s0
	s_delay_alu instid0(SALU_CYCLE_1)
	s_mov_b32 s0, exec_lo
	s_waitcnt lgkmcnt(0)
	s_barrier
	buffer_gl0_inv
	v_cmpx_gt_u32_e32 30, v8
	s_cbranch_execz .LBB127_29
; %bb.28:
	ds_load_b128 v[4:7], v17 offset:480
	ds_load_b128 v[18:21], v17
	s_waitcnt lgkmcnt(0)
	v_add_f64 v[4:5], v[4:5], v[18:19]
	v_add_f64 v[6:7], v[6:7], v[20:21]
	ds_store_b128 v17, v[4:7]
.LBB127_29:
	s_or_b32 exec_lo, exec_lo, s0
	s_delay_alu instid0(SALU_CYCLE_1)
	s_mov_b32 s0, exec_lo
	s_waitcnt lgkmcnt(0)
	buffer_gl0_inv
	v_cmpx_lt_u32_e32 14, v8
	s_xor_b32 s0, exec_lo, s0
	s_cbranch_execz .LBB127_31
; %bb.30:
	buffer_gl0_inv
                                        ; implicit-def: $vgpr17
.LBB127_31:
	s_and_not1_saveexec_b32 s0, s0
	s_cbranch_execz .LBB127_33
; %bb.32:
	ds_load_b128 v[0:3], v17 offset:240
	ds_load_b128 v[4:7], v17
	s_waitcnt lgkmcnt(0)
	v_add_f64 v[0:1], v[0:1], v[4:5]
	v_add_f64 v[2:3], v[2:3], v[6:7]
	ds_store_b128 v17, v[0:3]
	s_waitcnt lgkmcnt(0)
	buffer_gl0_inv
	ds_load_b128 v[0:3], v17
.LBB127_33:
	s_or_b32 exec_lo, exec_lo, s0
	s_waitcnt lgkmcnt(0)
	v_dual_mov_b32 v7, v3 :: v_dual_mov_b32 v6, v2
	v_dual_mov_b32 v5, v1 :: v_dual_mov_b32 v4, v0
.LBB127_34:
	v_cmp_gt_u32_e32 vcc_lo, 15, v8
	s_and_b32 exec_lo, exec_lo, vcc_lo
	s_cbranch_execz .LBB127_39
; %bb.35:
	s_waitcnt lgkmcnt(0)
	v_mul_f64 v[0:1], v[6:7], -v[15:16]
	v_mul_f64 v[2:3], v[13:14], v[6:7]
	v_cmp_eq_f64_e32 vcc_lo, 0, v[9:10]
	v_cmp_eq_f64_e64 s0, 0, v[11:12]
	s_delay_alu instid0(VALU_DEP_4) | instskip(NEXT) | instid1(VALU_DEP_4)
	v_fma_f64 v[0:1], v[13:14], v[4:5], v[0:1]
	v_fma_f64 v[2:3], v[15:16], v[4:5], v[2:3]
	s_delay_alu instid0(VALU_DEP_3) | instskip(NEXT) | instid1(SALU_CYCLE_1)
	s_and_b32 s0, vcc_lo, s0
	s_and_saveexec_b32 s1, s0
	s_delay_alu instid0(SALU_CYCLE_1)
	s_xor_b32 s0, exec_lo, s1
	s_cbranch_execz .LBB127_37
; %bb.36:
	v_mad_u64_u32 v[4:5], null, s12, 15, v[8:9]
	v_mov_b32_e32 v5, 0
                                        ; implicit-def: $vgpr8
                                        ; implicit-def: $vgpr9_vgpr10
                                        ; implicit-def: $vgpr11_vgpr12
	s_delay_alu instid0(VALU_DEP_1) | instskip(NEXT) | instid1(VALU_DEP_1)
	v_lshlrev_b64 v[4:5], 4, v[4:5]
	v_add_co_u32 v4, vcc_lo, s8, v4
	s_delay_alu instid0(VALU_DEP_2)
	v_add_co_ci_u32_e32 v5, vcc_lo, s9, v5, vcc_lo
	global_store_b128 v[4:5], v[0:3], off
                                        ; implicit-def: $vgpr0_vgpr1
.LBB127_37:
	s_and_not1_saveexec_b32 s0, s0
	s_cbranch_execz .LBB127_39
; %bb.38:
	v_mad_u64_u32 v[4:5], null, s12, 15, v[8:9]
	v_mov_b32_e32 v5, 0
	s_delay_alu instid0(VALU_DEP_1) | instskip(NEXT) | instid1(VALU_DEP_1)
	v_lshlrev_b64 v[4:5], 4, v[4:5]
	v_add_co_u32 v13, vcc_lo, s8, v4
	s_delay_alu instid0(VALU_DEP_2) | instskip(SKIP_4) | instid1(VALU_DEP_2)
	v_add_co_ci_u32_e32 v14, vcc_lo, s9, v5, vcc_lo
	global_load_b128 v[4:7], v[13:14], off
	s_waitcnt vmcnt(0)
	v_fma_f64 v[0:1], v[9:10], v[4:5], v[0:1]
	v_fma_f64 v[2:3], v[11:12], v[4:5], v[2:3]
	v_fma_f64 v[0:1], -v[11:12], v[6:7], v[0:1]
	s_delay_alu instid0(VALU_DEP_2)
	v_fma_f64 v[2:3], v[9:10], v[6:7], v[2:3]
	global_store_b128 v[13:14], v[0:3], off
.LBB127_39:
	s_nop 0
	s_sendmsg sendmsg(MSG_DEALLOC_VGPRS)
	s_endpgm
	.section	.rodata,"a",@progbits
	.p2align	6, 0x0
	.amdhsa_kernel _ZN9rocsparseL22gebsrmvn_mxn_16_kernelILj120ELj15ELj8E21rocsparse_complex_numIdEEEvi20rocsparse_direction_NS_24const_host_device_scalarIT2_EEPKiS8_PKS5_iiSA_S6_PS5_21rocsparse_index_base_b
		.amdhsa_group_segment_fixed_size 3840
		.amdhsa_private_segment_fixed_size 0
		.amdhsa_kernarg_size 96
		.amdhsa_user_sgpr_count 15
		.amdhsa_user_sgpr_dispatch_ptr 1
		.amdhsa_user_sgpr_queue_ptr 0
		.amdhsa_user_sgpr_kernarg_segment_ptr 1
		.amdhsa_user_sgpr_dispatch_id 0
		.amdhsa_user_sgpr_private_segment_size 0
		.amdhsa_wavefront_size32 1
		.amdhsa_uses_dynamic_stack 0
		.amdhsa_enable_private_segment 0
		.amdhsa_system_sgpr_workgroup_id_x 1
		.amdhsa_system_sgpr_workgroup_id_y 0
		.amdhsa_system_sgpr_workgroup_id_z 0
		.amdhsa_system_sgpr_workgroup_info 0
		.amdhsa_system_vgpr_workitem_id 2
		.amdhsa_next_free_vgpr 28
		.amdhsa_next_free_sgpr 18
		.amdhsa_reserve_vcc 1
		.amdhsa_float_round_mode_32 0
		.amdhsa_float_round_mode_16_64 0
		.amdhsa_float_denorm_mode_32 3
		.amdhsa_float_denorm_mode_16_64 3
		.amdhsa_dx10_clamp 1
		.amdhsa_ieee_mode 1
		.amdhsa_fp16_overflow 0
		.amdhsa_workgroup_processor_mode 1
		.amdhsa_memory_ordered 1
		.amdhsa_forward_progress 0
		.amdhsa_shared_vgpr_count 0
		.amdhsa_exception_fp_ieee_invalid_op 0
		.amdhsa_exception_fp_denorm_src 0
		.amdhsa_exception_fp_ieee_div_zero 0
		.amdhsa_exception_fp_ieee_overflow 0
		.amdhsa_exception_fp_ieee_underflow 0
		.amdhsa_exception_fp_ieee_inexact 0
		.amdhsa_exception_int_div_zero 0
	.end_amdhsa_kernel
	.section	.text._ZN9rocsparseL22gebsrmvn_mxn_16_kernelILj120ELj15ELj8E21rocsparse_complex_numIdEEEvi20rocsparse_direction_NS_24const_host_device_scalarIT2_EEPKiS8_PKS5_iiSA_S6_PS5_21rocsparse_index_base_b,"axG",@progbits,_ZN9rocsparseL22gebsrmvn_mxn_16_kernelILj120ELj15ELj8E21rocsparse_complex_numIdEEEvi20rocsparse_direction_NS_24const_host_device_scalarIT2_EEPKiS8_PKS5_iiSA_S6_PS5_21rocsparse_index_base_b,comdat
.Lfunc_end127:
	.size	_ZN9rocsparseL22gebsrmvn_mxn_16_kernelILj120ELj15ELj8E21rocsparse_complex_numIdEEEvi20rocsparse_direction_NS_24const_host_device_scalarIT2_EEPKiS8_PKS5_iiSA_S6_PS5_21rocsparse_index_base_b, .Lfunc_end127-_ZN9rocsparseL22gebsrmvn_mxn_16_kernelILj120ELj15ELj8E21rocsparse_complex_numIdEEEvi20rocsparse_direction_NS_24const_host_device_scalarIT2_EEPKiS8_PKS5_iiSA_S6_PS5_21rocsparse_index_base_b
                                        ; -- End function
	.section	.AMDGPU.csdata,"",@progbits
; Kernel info:
; codeLenInByte = 1680
; NumSgprs: 20
; NumVgprs: 28
; ScratchSize: 0
; MemoryBound: 0
; FloatMode: 240
; IeeeMode: 1
; LDSByteSize: 3840 bytes/workgroup (compile time only)
; SGPRBlocks: 2
; VGPRBlocks: 3
; NumSGPRsForWavesPerEU: 20
; NumVGPRsForWavesPerEU: 28
; Occupancy: 16
; WaveLimiterHint : 1
; COMPUTE_PGM_RSRC2:SCRATCH_EN: 0
; COMPUTE_PGM_RSRC2:USER_SGPR: 15
; COMPUTE_PGM_RSRC2:TRAP_HANDLER: 0
; COMPUTE_PGM_RSRC2:TGID_X_EN: 1
; COMPUTE_PGM_RSRC2:TGID_Y_EN: 0
; COMPUTE_PGM_RSRC2:TGID_Z_EN: 0
; COMPUTE_PGM_RSRC2:TIDIG_COMP_CNT: 2
	.section	.text._ZN9rocsparseL22gebsrmvn_mxn_16_kernelILj64ELj16ELj1E21rocsparse_complex_numIdEEEvi20rocsparse_direction_NS_24const_host_device_scalarIT2_EEPKiS8_PKS5_iiSA_S6_PS5_21rocsparse_index_base_b,"axG",@progbits,_ZN9rocsparseL22gebsrmvn_mxn_16_kernelILj64ELj16ELj1E21rocsparse_complex_numIdEEEvi20rocsparse_direction_NS_24const_host_device_scalarIT2_EEPKiS8_PKS5_iiSA_S6_PS5_21rocsparse_index_base_b,comdat
	.globl	_ZN9rocsparseL22gebsrmvn_mxn_16_kernelILj64ELj16ELj1E21rocsparse_complex_numIdEEEvi20rocsparse_direction_NS_24const_host_device_scalarIT2_EEPKiS8_PKS5_iiSA_S6_PS5_21rocsparse_index_base_b ; -- Begin function _ZN9rocsparseL22gebsrmvn_mxn_16_kernelILj64ELj16ELj1E21rocsparse_complex_numIdEEEvi20rocsparse_direction_NS_24const_host_device_scalarIT2_EEPKiS8_PKS5_iiSA_S6_PS5_21rocsparse_index_base_b
	.p2align	8
	.type	_ZN9rocsparseL22gebsrmvn_mxn_16_kernelILj64ELj16ELj1E21rocsparse_complex_numIdEEEvi20rocsparse_direction_NS_24const_host_device_scalarIT2_EEPKiS8_PKS5_iiSA_S6_PS5_21rocsparse_index_base_b,@function
_ZN9rocsparseL22gebsrmvn_mxn_16_kernelILj64ELj16ELj1E21rocsparse_complex_numIdEEEvi20rocsparse_direction_NS_24const_host_device_scalarIT2_EEPKiS8_PKS5_iiSA_S6_PS5_21rocsparse_index_base_b: ; @_ZN9rocsparseL22gebsrmvn_mxn_16_kernelILj64ELj16ELj1E21rocsparse_complex_numIdEEEvi20rocsparse_direction_NS_24const_host_device_scalarIT2_EEPKiS8_PKS5_iiSA_S6_PS5_21rocsparse_index_base_b
; %bb.0:
	s_mov_b32 s12, s15
	s_load_b64 s[14:15], s[2:3], 0x58
	s_load_b64 s[16:17], s[0:1], 0x4
	s_load_b128 s[8:11], s[2:3], 0x8
	v_bfe_u32 v1, v0, 10, 10
	s_mov_b64 s[0:1], src_shared_base
	s_load_b128 s[4:7], s[2:3], 0x40
	v_and_b32_e32 v16, 0x3ff, v0
	v_bfe_u32 v0, v0, 20, 10
	s_waitcnt lgkmcnt(0)
	s_bitcmp1_b32 s15, 0
	v_mul_u32_u24_e32 v1, s17, v1
	s_cselect_b32 s0, -1, 0
	v_mov_b32_e32 v10, s10
	s_and_b32 vcc_lo, s0, exec_lo
	s_cselect_b32 s13, s1, s9
	s_lshr_b32 s15, s16, 16
	v_dual_mov_b32 v2, s4 :: v_dual_mov_b32 v11, s11
	s_mul_i32 s15, s15, s17
	s_xor_b32 s10, s0, -1
	v_mad_u32_u24 v1, s15, v16, v1
	v_mov_b32_e32 v5, s13
	v_mov_b32_e32 v3, s5
	s_delay_alu instid0(VALU_DEP_3) | instskip(SKIP_1) | instid1(VALU_DEP_2)
	v_add_lshl_u32 v6, v1, v0, 3
	v_dual_mov_b32 v0, s8 :: v_dual_mov_b32 v1, s9
	v_add_nc_u32_e32 v4, 0x600, v6
	ds_store_2addr_stride64_b64 v6, v[2:3], v[0:1] offset0:2 offset1:3
	v_add_nc_u32_e32 v0, 0x400, v6
	v_cndmask_b32_e64 v4, s8, v4, s0
	flat_load_b64 v[4:5], v[4:5]
	s_cbranch_vccnz .LBB128_2
; %bb.1:
	v_dual_mov_b32 v1, s8 :: v_dual_mov_b32 v2, s9
	flat_load_b64 v[10:11], v[1:2] offset:8
.LBB128_2:
	s_and_b32 s8, s0, exec_lo
	s_cselect_b32 s1, s1, s5
	v_cndmask_b32_e64 v0, s4, v0, s0
	v_mov_b32_e32 v1, s1
	v_dual_mov_b32 v9, s7 :: v_dual_mov_b32 v8, s6
	s_and_not1_b32 vcc_lo, exec_lo, s10
	flat_load_b64 v[6:7], v[0:1]
	s_cbranch_vccnz .LBB128_4
; %bb.3:
	v_dual_mov_b32 v0, s4 :: v_dual_mov_b32 v1, s5
	flat_load_b64 v[8:9], v[0:1] offset:8
.LBB128_4:
	s_waitcnt vmcnt(1) lgkmcnt(1)
	v_cmp_eq_f64_e32 vcc_lo, 0, v[4:5]
	v_cmp_eq_f64_e64 s0, 0, v[10:11]
	s_delay_alu instid0(VALU_DEP_1)
	s_and_b32 s4, vcc_lo, s0
	s_mov_b32 s0, -1
	s_and_saveexec_b32 s1, s4
	s_cbranch_execz .LBB128_6
; %bb.5:
	s_waitcnt vmcnt(0) lgkmcnt(0)
	v_cmp_neq_f64_e32 vcc_lo, 1.0, v[6:7]
	v_cmp_neq_f64_e64 s0, 0, v[8:9]
	s_delay_alu instid0(VALU_DEP_1) | instskip(NEXT) | instid1(SALU_CYCLE_1)
	s_or_b32 s0, vcc_lo, s0
	s_or_not1_b32 s0, s0, exec_lo
.LBB128_6:
	s_or_b32 exec_lo, exec_lo, s1
	s_and_saveexec_b32 s1, s0
	s_cbranch_execz .LBB128_23
; %bb.7:
	s_load_b64 s[0:1], s[2:3], 0x18
	s_ashr_i32 s13, s12, 31
	v_mov_b32_e32 v2, 0
	s_lshl_b64 s[4:5], s[12:13], 2
	v_mov_b32_e32 v3, 0
	s_delay_alu instid0(VALU_DEP_1)
	v_dual_mov_b32 v0, v2 :: v_dual_mov_b32 v1, v3
	s_waitcnt lgkmcnt(0)
	s_add_u32 s0, s0, s4
	s_addc_u32 s1, s1, s5
	s_load_b64 s[10:11], s[0:1], 0x0
	s_load_b64 s[8:9], s[2:3], 0x50
	s_waitcnt lgkmcnt(0)
	s_cmp_ge_i32 s10, s11
	s_cbranch_scc1 .LBB128_12
; %bb.8:
	s_clause 0x1
	s_load_b128 s[4:7], s[2:3], 0x20
	s_load_b64 s[0:1], s[2:3], 0x38
	v_dual_mov_b32 v2, 0 :: v_dual_mov_b32 v13, 0
	v_lshl_add_u32 v0, s10, 4, v16
	v_mov_b32_e32 v3, 0
	s_lshl_b32 s2, s14, 4
	v_lshrrev_b32_e32 v17, 4, v16
	s_sub_i32 s3, s10, s14
	v_subrev_nc_u32_e32 v12, s2, v0
	v_dual_mov_b32 v0, v2 :: v_dual_mov_b32 v1, v3
	s_sub_i32 s2, s11, s14
	s_set_inst_prefetch_distance 0x1
	s_branch .LBB128_10
	.p2align	6
.LBB128_9:                              ;   in Loop: Header=BB128_10 Depth=1
	s_or_b32 exec_lo, exec_lo, s10
	v_add_nc_u32_e32 v12, 64, v12
	s_add_i32 s3, s3, 4
	s_delay_alu instid0(SALU_CYCLE_1)
	s_cmp_ge_i32 s3, s2
	s_cbranch_scc1 .LBB128_12
.LBB128_10:                             ; =>This Inner Loop Header: Depth=1
	v_add_nc_u32_e32 v14, s3, v17
	s_mov_b32 s10, exec_lo
	s_delay_alu instid0(VALU_DEP_1)
	v_cmpx_gt_i32_e64 s2, v14
	s_cbranch_execz .LBB128_9
; %bb.11:                               ;   in Loop: Header=BB128_10 Depth=1
	v_ashrrev_i32_e32 v15, 31, v14
	v_lshlrev_b64 v[18:19], 4, v[12:13]
	s_delay_alu instid0(VALU_DEP_2) | instskip(SKIP_1) | instid1(VALU_DEP_1)
	v_lshlrev_b64 v[14:15], 2, v[14:15]
	s_waitcnt lgkmcnt(0)
	v_add_co_u32 v14, vcc_lo, s4, v14
	s_delay_alu instid0(VALU_DEP_2) | instskip(NEXT) | instid1(VALU_DEP_4)
	v_add_co_ci_u32_e32 v15, vcc_lo, s5, v15, vcc_lo
	v_add_co_u32 v18, vcc_lo, s6, v18
	v_add_co_ci_u32_e32 v19, vcc_lo, s7, v19, vcc_lo
	global_load_b32 v14, v[14:15], off
	s_waitcnt vmcnt(0)
	v_subrev_nc_u32_e32 v14, s14, v14
	s_delay_alu instid0(VALU_DEP_1) | instskip(NEXT) | instid1(VALU_DEP_1)
	v_ashrrev_i32_e32 v15, 31, v14
	v_lshlrev_b64 v[14:15], 4, v[14:15]
	s_delay_alu instid0(VALU_DEP_1) | instskip(NEXT) | instid1(VALU_DEP_2)
	v_add_co_u32 v14, vcc_lo, s0, v14
	v_add_co_ci_u32_e32 v15, vcc_lo, s1, v15, vcc_lo
	global_load_b128 v[18:21], v[18:19], off
	global_load_b128 v[22:25], v[14:15], off
	s_waitcnt vmcnt(0)
	v_fma_f64 v[0:1], v[18:19], v[22:23], v[0:1]
	v_fma_f64 v[2:3], v[20:21], v[22:23], v[2:3]
	s_delay_alu instid0(VALU_DEP_2) | instskip(NEXT) | instid1(VALU_DEP_2)
	v_fma_f64 v[0:1], -v[20:21], v[24:25], v[0:1]
	v_fma_f64 v[2:3], v[18:19], v[24:25], v[2:3]
	s_branch .LBB128_9
.LBB128_12:
	s_set_inst_prefetch_distance 0x2
	v_lshlrev_b32_e32 v12, 4, v16
	s_waitcnt lgkmcnt(0)
	s_mov_b32 s0, exec_lo
	ds_store_b128 v12, v[0:3]
	s_waitcnt vmcnt(0) lgkmcnt(0)
	s_barrier
	buffer_gl0_inv
	v_cmpx_gt_u32_e32 32, v16
	s_cbranch_execz .LBB128_14
; %bb.13:
	ds_load_b128 v[17:20], v12 offset:512
	ds_load_b128 v[21:24], v12
	s_waitcnt lgkmcnt(0)
	v_add_f64 v[17:18], v[17:18], v[21:22]
	v_add_f64 v[19:20], v[19:20], v[23:24]
	ds_store_b128 v12, v[17:20]
.LBB128_14:
	s_or_b32 exec_lo, exec_lo, s0
	v_cmp_gt_u32_e32 vcc_lo, 16, v16
	s_waitcnt lgkmcnt(0)
	s_barrier
	buffer_gl0_inv
	s_and_saveexec_b32 s0, vcc_lo
	s_cbranch_execz .LBB128_16
; %bb.15:
	ds_load_b128 v[17:20], v12 offset:256
	ds_load_b128 v[21:24], v12
	s_waitcnt lgkmcnt(0)
	v_add_f64 v[17:18], v[17:18], v[21:22]
	v_add_f64 v[19:20], v[19:20], v[23:24]
	ds_store_b128 v12, v[17:20]
.LBB128_16:
	s_or_b32 exec_lo, exec_lo, s0
	s_waitcnt lgkmcnt(0)
	s_barrier
	buffer_gl0_inv
	s_and_saveexec_b32 s0, vcc_lo
	s_cbranch_execz .LBB128_18
; %bb.17:
	ds_load_b128 v[0:3], v12
.LBB128_18:
	s_or_b32 exec_lo, exec_lo, s0
	s_delay_alu instid0(SALU_CYCLE_1)
	s_and_b32 exec_lo, exec_lo, vcc_lo
	s_cbranch_execz .LBB128_23
; %bb.19:
	s_waitcnt lgkmcnt(0)
	v_mul_f64 v[12:13], v[2:3], -v[10:11]
	v_mul_f64 v[14:15], v[4:5], v[2:3]
	v_cmp_eq_f64_e32 vcc_lo, 0, v[6:7]
	v_cmp_eq_f64_e64 s0, 0, v[8:9]
	s_delay_alu instid0(VALU_DEP_4) | instskip(NEXT) | instid1(VALU_DEP_4)
	v_fma_f64 v[2:3], v[4:5], v[0:1], v[12:13]
	v_fma_f64 v[4:5], v[10:11], v[0:1], v[14:15]
	v_lshl_or_b32 v0, s12, 4, v16
	s_delay_alu instid0(VALU_DEP_4) | instskip(NEXT) | instid1(SALU_CYCLE_1)
	s_and_b32 s0, vcc_lo, s0
	s_and_saveexec_b32 s1, s0
	s_delay_alu instid0(SALU_CYCLE_1)
	s_xor_b32 s0, exec_lo, s1
	s_cbranch_execz .LBB128_21
; %bb.20:
	v_mov_b32_e32 v1, 0
                                        ; implicit-def: $vgpr6_vgpr7
                                        ; implicit-def: $vgpr8_vgpr9
	s_delay_alu instid0(VALU_DEP_1) | instskip(NEXT) | instid1(VALU_DEP_1)
	v_lshlrev_b64 v[0:1], 4, v[0:1]
	v_add_co_u32 v0, vcc_lo, s8, v0
	s_delay_alu instid0(VALU_DEP_2)
	v_add_co_ci_u32_e32 v1, vcc_lo, s9, v1, vcc_lo
	global_store_b128 v[0:1], v[2:5], off
                                        ; implicit-def: $vgpr0
                                        ; implicit-def: $vgpr2_vgpr3
.LBB128_21:
	s_and_not1_saveexec_b32 s0, s0
	s_cbranch_execz .LBB128_23
; %bb.22:
	v_mov_b32_e32 v1, 0
	s_delay_alu instid0(VALU_DEP_1) | instskip(NEXT) | instid1(VALU_DEP_1)
	v_lshlrev_b64 v[0:1], 4, v[0:1]
	v_add_co_u32 v14, vcc_lo, s8, v0
	s_delay_alu instid0(VALU_DEP_2) | instskip(SKIP_4) | instid1(VALU_DEP_2)
	v_add_co_ci_u32_e32 v15, vcc_lo, s9, v1, vcc_lo
	global_load_b128 v[10:13], v[14:15], off
	s_waitcnt vmcnt(0)
	v_fma_f64 v[0:1], v[6:7], v[10:11], v[2:3]
	v_fma_f64 v[2:3], v[8:9], v[10:11], v[4:5]
	v_fma_f64 v[0:1], -v[8:9], v[12:13], v[0:1]
	s_delay_alu instid0(VALU_DEP_2)
	v_fma_f64 v[2:3], v[6:7], v[12:13], v[2:3]
	global_store_b128 v[14:15], v[0:3], off
.LBB128_23:
	s_nop 0
	s_sendmsg sendmsg(MSG_DEALLOC_VGPRS)
	s_endpgm
	.section	.rodata,"a",@progbits
	.p2align	6, 0x0
	.amdhsa_kernel _ZN9rocsparseL22gebsrmvn_mxn_16_kernelILj64ELj16ELj1E21rocsparse_complex_numIdEEEvi20rocsparse_direction_NS_24const_host_device_scalarIT2_EEPKiS8_PKS5_iiSA_S6_PS5_21rocsparse_index_base_b
		.amdhsa_group_segment_fixed_size 2048
		.amdhsa_private_segment_fixed_size 0
		.amdhsa_kernarg_size 96
		.amdhsa_user_sgpr_count 15
		.amdhsa_user_sgpr_dispatch_ptr 1
		.amdhsa_user_sgpr_queue_ptr 0
		.amdhsa_user_sgpr_kernarg_segment_ptr 1
		.amdhsa_user_sgpr_dispatch_id 0
		.amdhsa_user_sgpr_private_segment_size 0
		.amdhsa_wavefront_size32 1
		.amdhsa_uses_dynamic_stack 0
		.amdhsa_enable_private_segment 0
		.amdhsa_system_sgpr_workgroup_id_x 1
		.amdhsa_system_sgpr_workgroup_id_y 0
		.amdhsa_system_sgpr_workgroup_id_z 0
		.amdhsa_system_sgpr_workgroup_info 0
		.amdhsa_system_vgpr_workitem_id 2
		.amdhsa_next_free_vgpr 26
		.amdhsa_next_free_sgpr 18
		.amdhsa_reserve_vcc 1
		.amdhsa_float_round_mode_32 0
		.amdhsa_float_round_mode_16_64 0
		.amdhsa_float_denorm_mode_32 3
		.amdhsa_float_denorm_mode_16_64 3
		.amdhsa_dx10_clamp 1
		.amdhsa_ieee_mode 1
		.amdhsa_fp16_overflow 0
		.amdhsa_workgroup_processor_mode 1
		.amdhsa_memory_ordered 1
		.amdhsa_forward_progress 0
		.amdhsa_shared_vgpr_count 0
		.amdhsa_exception_fp_ieee_invalid_op 0
		.amdhsa_exception_fp_denorm_src 0
		.amdhsa_exception_fp_ieee_div_zero 0
		.amdhsa_exception_fp_ieee_overflow 0
		.amdhsa_exception_fp_ieee_underflow 0
		.amdhsa_exception_fp_ieee_inexact 0
		.amdhsa_exception_int_div_zero 0
	.end_amdhsa_kernel
	.section	.text._ZN9rocsparseL22gebsrmvn_mxn_16_kernelILj64ELj16ELj1E21rocsparse_complex_numIdEEEvi20rocsparse_direction_NS_24const_host_device_scalarIT2_EEPKiS8_PKS5_iiSA_S6_PS5_21rocsparse_index_base_b,"axG",@progbits,_ZN9rocsparseL22gebsrmvn_mxn_16_kernelILj64ELj16ELj1E21rocsparse_complex_numIdEEEvi20rocsparse_direction_NS_24const_host_device_scalarIT2_EEPKiS8_PKS5_iiSA_S6_PS5_21rocsparse_index_base_b,comdat
.Lfunc_end128:
	.size	_ZN9rocsparseL22gebsrmvn_mxn_16_kernelILj64ELj16ELj1E21rocsparse_complex_numIdEEEvi20rocsparse_direction_NS_24const_host_device_scalarIT2_EEPKiS8_PKS5_iiSA_S6_PS5_21rocsparse_index_base_b, .Lfunc_end128-_ZN9rocsparseL22gebsrmvn_mxn_16_kernelILj64ELj16ELj1E21rocsparse_complex_numIdEEEvi20rocsparse_direction_NS_24const_host_device_scalarIT2_EEPKiS8_PKS5_iiSA_S6_PS5_21rocsparse_index_base_b
                                        ; -- End function
	.section	.AMDGPU.csdata,"",@progbits
; Kernel info:
; codeLenInByte = 1160
; NumSgprs: 20
; NumVgprs: 26
; ScratchSize: 0
; MemoryBound: 0
; FloatMode: 240
; IeeeMode: 1
; LDSByteSize: 2048 bytes/workgroup (compile time only)
; SGPRBlocks: 2
; VGPRBlocks: 3
; NumSGPRsForWavesPerEU: 20
; NumVGPRsForWavesPerEU: 26
; Occupancy: 16
; WaveLimiterHint : 1
; COMPUTE_PGM_RSRC2:SCRATCH_EN: 0
; COMPUTE_PGM_RSRC2:USER_SGPR: 15
; COMPUTE_PGM_RSRC2:TRAP_HANDLER: 0
; COMPUTE_PGM_RSRC2:TGID_X_EN: 1
; COMPUTE_PGM_RSRC2:TGID_Y_EN: 0
; COMPUTE_PGM_RSRC2:TGID_Z_EN: 0
; COMPUTE_PGM_RSRC2:TIDIG_COMP_CNT: 2
	.section	.text._ZN9rocsparseL22gebsrmvn_mxn_16_kernelILj64ELj16ELj2E21rocsparse_complex_numIdEEEvi20rocsparse_direction_NS_24const_host_device_scalarIT2_EEPKiS8_PKS5_iiSA_S6_PS5_21rocsparse_index_base_b,"axG",@progbits,_ZN9rocsparseL22gebsrmvn_mxn_16_kernelILj64ELj16ELj2E21rocsparse_complex_numIdEEEvi20rocsparse_direction_NS_24const_host_device_scalarIT2_EEPKiS8_PKS5_iiSA_S6_PS5_21rocsparse_index_base_b,comdat
	.globl	_ZN9rocsparseL22gebsrmvn_mxn_16_kernelILj64ELj16ELj2E21rocsparse_complex_numIdEEEvi20rocsparse_direction_NS_24const_host_device_scalarIT2_EEPKiS8_PKS5_iiSA_S6_PS5_21rocsparse_index_base_b ; -- Begin function _ZN9rocsparseL22gebsrmvn_mxn_16_kernelILj64ELj16ELj2E21rocsparse_complex_numIdEEEvi20rocsparse_direction_NS_24const_host_device_scalarIT2_EEPKiS8_PKS5_iiSA_S6_PS5_21rocsparse_index_base_b
	.p2align	8
	.type	_ZN9rocsparseL22gebsrmvn_mxn_16_kernelILj64ELj16ELj2E21rocsparse_complex_numIdEEEvi20rocsparse_direction_NS_24const_host_device_scalarIT2_EEPKiS8_PKS5_iiSA_S6_PS5_21rocsparse_index_base_b,@function
_ZN9rocsparseL22gebsrmvn_mxn_16_kernelILj64ELj16ELj2E21rocsparse_complex_numIdEEEvi20rocsparse_direction_NS_24const_host_device_scalarIT2_EEPKiS8_PKS5_iiSA_S6_PS5_21rocsparse_index_base_b: ; @_ZN9rocsparseL22gebsrmvn_mxn_16_kernelILj64ELj16ELj2E21rocsparse_complex_numIdEEEvi20rocsparse_direction_NS_24const_host_device_scalarIT2_EEPKiS8_PKS5_iiSA_S6_PS5_21rocsparse_index_base_b
; %bb.0:
	s_mov_b32 s12, s15
	s_load_b64 s[14:15], s[2:3], 0x58
	s_load_b64 s[16:17], s[0:1], 0x4
	s_load_b128 s[8:11], s[2:3], 0x8
	v_bfe_u32 v1, v0, 10, 10
	s_mov_b64 s[0:1], src_shared_base
	s_load_b128 s[4:7], s[2:3], 0x40
	v_and_b32_e32 v16, 0x3ff, v0
	v_bfe_u32 v0, v0, 20, 10
	s_waitcnt lgkmcnt(0)
	s_bitcmp1_b32 s15, 0
	v_mul_u32_u24_e32 v1, s17, v1
	s_cselect_b32 s0, -1, 0
	v_mov_b32_e32 v15, s11
	s_and_b32 vcc_lo, s0, exec_lo
	s_cselect_b32 s13, s1, s9
	s_lshr_b32 s15, s16, 16
	v_mov_b32_e32 v2, s4
	s_mul_i32 s15, s15, s17
	v_mov_b32_e32 v14, s10
	v_mad_u32_u24 v1, s15, v16, v1
	s_xor_b32 s10, s0, -1
	v_mov_b32_e32 v5, s13
	v_mov_b32_e32 v3, s5
	s_delay_alu instid0(VALU_DEP_3) | instskip(SKIP_1) | instid1(VALU_DEP_2)
	v_add_lshl_u32 v6, v1, v0, 3
	v_dual_mov_b32 v0, s8 :: v_dual_mov_b32 v1, s9
	v_add_nc_u32_e32 v4, 0x600, v6
	ds_store_2addr_stride64_b64 v6, v[2:3], v[0:1] offset0:2 offset1:3
	v_add_nc_u32_e32 v0, 0x400, v6
	v_cndmask_b32_e64 v4, s8, v4, s0
	flat_load_b64 v[12:13], v[4:5]
	s_cbranch_vccnz .LBB129_2
; %bb.1:
	v_dual_mov_b32 v1, s8 :: v_dual_mov_b32 v2, s9
	flat_load_b64 v[14:15], v[1:2] offset:8
.LBB129_2:
	s_and_b32 s8, s0, exec_lo
	s_cselect_b32 s1, s1, s5
	v_cndmask_b32_e64 v0, s4, v0, s0
	v_mov_b32_e32 v1, s1
	v_dual_mov_b32 v11, s7 :: v_dual_mov_b32 v10, s6
	s_and_not1_b32 vcc_lo, exec_lo, s10
	flat_load_b64 v[8:9], v[0:1]
	s_cbranch_vccnz .LBB129_4
; %bb.3:
	v_dual_mov_b32 v0, s4 :: v_dual_mov_b32 v1, s5
	flat_load_b64 v[10:11], v[0:1] offset:8
.LBB129_4:
	s_waitcnt vmcnt(1) lgkmcnt(1)
	v_cmp_eq_f64_e32 vcc_lo, 0, v[12:13]
	v_cmp_eq_f64_e64 s0, 0, v[14:15]
	s_delay_alu instid0(VALU_DEP_1)
	s_and_b32 s4, vcc_lo, s0
	s_mov_b32 s0, -1
	s_and_saveexec_b32 s1, s4
	s_cbranch_execz .LBB129_6
; %bb.5:
	s_waitcnt vmcnt(0) lgkmcnt(0)
	v_cmp_neq_f64_e32 vcc_lo, 1.0, v[8:9]
	v_cmp_neq_f64_e64 s0, 0, v[10:11]
	s_delay_alu instid0(VALU_DEP_1) | instskip(NEXT) | instid1(SALU_CYCLE_1)
	s_or_b32 s0, vcc_lo, s0
	s_or_not1_b32 s0, s0, exec_lo
.LBB129_6:
	s_or_b32 exec_lo, exec_lo, s1
	s_and_saveexec_b32 s1, s0
	s_cbranch_execz .LBB129_31
; %bb.7:
	s_clause 0x1
	s_load_b32 s4, s[2:3], 0x4
	s_load_b64 s[0:1], s[2:3], 0x18
	v_mov_b32_e32 v2, 0
	v_dual_mov_b32 v3, 0 :: v_dual_and_b32 v18, 1, v16
	s_delay_alu instid0(VALU_DEP_1)
	v_dual_mov_b32 v0, v2 :: v_dual_mov_b32 v1, v3
	s_waitcnt lgkmcnt(0)
	s_cmp_eq_u32 s4, 1
	s_cselect_b32 vcc_lo, -1, 0
	s_cmp_lg_u32 s4, 1
	s_cselect_b32 s15, -1, 0
	s_ashr_i32 s13, s12, 31
	s_delay_alu instid0(SALU_CYCLE_1) | instskip(NEXT) | instid1(SALU_CYCLE_1)
	s_lshl_b64 s[4:5], s[12:13], 2
	s_add_u32 s0, s0, s4
	s_addc_u32 s1, s1, s5
	s_load_b64 s[10:11], s[0:1], 0x0
	s_load_b64 s[8:9], s[2:3], 0x50
	s_waitcnt lgkmcnt(0)
	s_cmp_ge_i32 s10, s11
	s_cbranch_scc1 .LBB129_12
; %bb.8:
	s_clause 0x1
	s_load_b128 s[4:7], s[2:3], 0x20
	s_load_b64 s[0:1], s[2:3], 0x38
	v_bfe_u32 v0, v16, 4, 1
	v_lshl_add_u32 v1, s10, 5, v16
	v_mov_b32_e32 v2, 0
	v_mov_b32_e32 v3, 0
	s_lshl_b32 s2, s14, 5
	v_cndmask_b32_e32 v17, v18, v0, vcc_lo
	v_subrev_nc_u32_e32 v4, s2, v1
	v_dual_mov_b32 v5, 0 :: v_dual_mov_b32 v0, v2
	v_lshrrev_b32_e32 v19, 5, v16
	v_mov_b32_e32 v1, v3
	s_sub_i32 s2, s11, s14
	s_sub_i32 s3, s10, s14
	s_set_inst_prefetch_distance 0x1
	s_branch .LBB129_10
	.p2align	6
.LBB129_9:                              ;   in Loop: Header=BB129_10 Depth=1
	s_or_b32 exec_lo, exec_lo, s10
	v_add_nc_u32_e32 v4, 64, v4
	s_add_i32 s3, s3, 2
	s_delay_alu instid0(SALU_CYCLE_1)
	s_cmp_ge_i32 s3, s2
	s_cbranch_scc1 .LBB129_12
.LBB129_10:                             ; =>This Inner Loop Header: Depth=1
	v_add_nc_u32_e32 v6, s3, v19
	s_mov_b32 s10, exec_lo
	s_delay_alu instid0(VALU_DEP_1)
	v_cmpx_gt_i32_e64 s2, v6
	s_cbranch_execz .LBB129_9
; %bb.11:                               ;   in Loop: Header=BB129_10 Depth=1
	v_ashrrev_i32_e32 v7, 31, v6
	v_lshlrev_b64 v[20:21], 4, v[4:5]
	s_delay_alu instid0(VALU_DEP_2) | instskip(SKIP_1) | instid1(VALU_DEP_1)
	v_lshlrev_b64 v[6:7], 2, v[6:7]
	s_waitcnt lgkmcnt(0)
	v_add_co_u32 v6, vcc_lo, s4, v6
	s_delay_alu instid0(VALU_DEP_2) | instskip(NEXT) | instid1(VALU_DEP_4)
	v_add_co_ci_u32_e32 v7, vcc_lo, s5, v7, vcc_lo
	v_add_co_u32 v20, vcc_lo, s6, v20
	v_add_co_ci_u32_e32 v21, vcc_lo, s7, v21, vcc_lo
	global_load_b32 v6, v[6:7], off
	s_waitcnt vmcnt(0)
	v_subrev_nc_u32_e32 v6, s14, v6
	s_delay_alu instid0(VALU_DEP_1) | instskip(NEXT) | instid1(VALU_DEP_1)
	v_lshl_or_b32 v6, v6, 1, v17
	v_ashrrev_i32_e32 v7, 31, v6
	s_delay_alu instid0(VALU_DEP_1) | instskip(NEXT) | instid1(VALU_DEP_1)
	v_lshlrev_b64 v[6:7], 4, v[6:7]
	v_add_co_u32 v6, vcc_lo, s0, v6
	s_delay_alu instid0(VALU_DEP_2)
	v_add_co_ci_u32_e32 v7, vcc_lo, s1, v7, vcc_lo
	global_load_b128 v[20:23], v[20:21], off
	global_load_b128 v[24:27], v[6:7], off
	s_waitcnt vmcnt(0)
	v_fma_f64 v[0:1], v[20:21], v[24:25], v[0:1]
	v_fma_f64 v[2:3], v[22:23], v[24:25], v[2:3]
	s_delay_alu instid0(VALU_DEP_2) | instskip(NEXT) | instid1(VALU_DEP_2)
	v_fma_f64 v[0:1], -v[22:23], v[26:27], v[0:1]
	v_fma_f64 v[2:3], v[20:21], v[26:27], v[2:3]
	s_branch .LBB129_9
.LBB129_12:
	s_set_inst_prefetch_distance 0x2
	v_lshlrev_b32_e32 v17, 4, v16
	s_waitcnt lgkmcnt(0)
	s_mov_b32 s0, exec_lo
	ds_store_b128 v17, v[0:3]
	s_waitcnt vmcnt(0) lgkmcnt(0)
	s_barrier
	buffer_gl0_inv
	v_cmpx_gt_u32_e32 32, v16
	s_cbranch_execz .LBB129_14
; %bb.13:
	ds_load_b128 v[4:7], v17 offset:512
	ds_load_b128 v[19:22], v17
	s_waitcnt lgkmcnt(0)
	v_add_f64 v[4:5], v[4:5], v[19:20]
	v_add_f64 v[6:7], v[6:7], v[21:22]
	ds_store_b128 v17, v[4:7]
.LBB129_14:
	s_or_b32 exec_lo, exec_lo, s0
	s_delay_alu instid0(SALU_CYCLE_1)
	s_and_b32 vcc_lo, exec_lo, s15
	s_waitcnt lgkmcnt(0)
	s_barrier
	buffer_gl0_inv
	s_cbranch_vccz .LBB129_20
; %bb.15:
	s_mov_b32 s0, exec_lo
	v_cmpx_eq_u32_e32 0, v18
	s_cbranch_execz .LBB129_17
; %bb.16:
	ds_load_b128 v[4:7], v17
	ds_load_b128 v[18:21], v17 offset:16
	s_waitcnt lgkmcnt(0)
	v_add_f64 v[4:5], v[18:19], v[4:5]
	v_add_f64 v[6:7], v[20:21], v[6:7]
	ds_store_b128 v17, v[4:7]
.LBB129_17:
	s_or_b32 exec_lo, exec_lo, s0
	v_dual_mov_b32 v7, v3 :: v_dual_mov_b32 v6, v2
	v_dual_mov_b32 v5, v1 :: v_dual_mov_b32 v4, v0
	s_mov_b32 s0, exec_lo
	s_waitcnt lgkmcnt(0)
	s_barrier
	buffer_gl0_inv
	v_cmpx_gt_u32_e32 16, v16
	s_cbranch_execz .LBB129_19
; %bb.18:
	v_lshl_add_u32 v4, v16, 4, v17
	ds_load_b128 v[4:7], v4
.LBB129_19:
	s_or_b32 exec_lo, exec_lo, s0
	s_branch .LBB129_26
.LBB129_20:
                                        ; implicit-def: $vgpr6_vgpr7
	s_cbranch_execz .LBB129_26
; %bb.21:
	s_mov_b32 s0, exec_lo
	v_cmpx_lt_u32_e32 15, v16
	s_xor_b32 s0, exec_lo, s0
	s_cbranch_execz .LBB129_23
; %bb.22:
	s_waitcnt lgkmcnt(0)
	buffer_gl0_inv
                                        ; implicit-def: $vgpr17
.LBB129_23:
	s_and_not1_saveexec_b32 s0, s0
	s_cbranch_execz .LBB129_25
; %bb.24:
	ds_load_b128 v[0:3], v17 offset:256
	s_waitcnt lgkmcnt(1)
	ds_load_b128 v[4:7], v17
	s_waitcnt lgkmcnt(0)
	v_add_f64 v[0:1], v[0:1], v[4:5]
	v_add_f64 v[2:3], v[2:3], v[6:7]
	ds_store_b128 v17, v[0:3]
	s_waitcnt lgkmcnt(0)
	buffer_gl0_inv
	ds_load_b128 v[0:3], v17
.LBB129_25:
	s_or_b32 exec_lo, exec_lo, s0
	s_waitcnt lgkmcnt(0)
	v_dual_mov_b32 v5, v1 :: v_dual_mov_b32 v4, v0
	v_dual_mov_b32 v7, v3 :: v_dual_mov_b32 v6, v2
.LBB129_26:
	v_cmp_gt_u32_e32 vcc_lo, 16, v16
	s_and_b32 exec_lo, exec_lo, vcc_lo
	s_cbranch_execz .LBB129_31
; %bb.27:
	s_waitcnt lgkmcnt(0)
	v_mul_f64 v[0:1], v[6:7], -v[14:15]
	v_mul_f64 v[2:3], v[12:13], v[6:7]
	v_cmp_eq_f64_e32 vcc_lo, 0, v[8:9]
	v_cmp_eq_f64_e64 s0, 0, v[10:11]
	s_delay_alu instid0(VALU_DEP_4) | instskip(NEXT) | instid1(VALU_DEP_4)
	v_fma_f64 v[0:1], v[12:13], v[4:5], v[0:1]
	v_fma_f64 v[2:3], v[14:15], v[4:5], v[2:3]
	v_lshl_or_b32 v4, s12, 4, v16
	s_delay_alu instid0(VALU_DEP_4) | instskip(NEXT) | instid1(SALU_CYCLE_1)
	s_and_b32 s0, vcc_lo, s0
	s_and_saveexec_b32 s1, s0
	s_delay_alu instid0(SALU_CYCLE_1)
	s_xor_b32 s0, exec_lo, s1
	s_cbranch_execz .LBB129_29
; %bb.28:
	v_mov_b32_e32 v5, 0
                                        ; implicit-def: $vgpr8_vgpr9
                                        ; implicit-def: $vgpr10_vgpr11
	s_delay_alu instid0(VALU_DEP_1) | instskip(NEXT) | instid1(VALU_DEP_1)
	v_lshlrev_b64 v[4:5], 4, v[4:5]
	v_add_co_u32 v4, vcc_lo, s8, v4
	s_delay_alu instid0(VALU_DEP_2)
	v_add_co_ci_u32_e32 v5, vcc_lo, s9, v5, vcc_lo
	global_store_b128 v[4:5], v[0:3], off
                                        ; implicit-def: $vgpr4
                                        ; implicit-def: $vgpr0_vgpr1
.LBB129_29:
	s_and_not1_saveexec_b32 s0, s0
	s_cbranch_execz .LBB129_31
; %bb.30:
	v_mov_b32_e32 v5, 0
	s_delay_alu instid0(VALU_DEP_1) | instskip(NEXT) | instid1(VALU_DEP_1)
	v_lshlrev_b64 v[4:5], 4, v[4:5]
	v_add_co_u32 v12, vcc_lo, s8, v4
	s_delay_alu instid0(VALU_DEP_2) | instskip(SKIP_4) | instid1(VALU_DEP_2)
	v_add_co_ci_u32_e32 v13, vcc_lo, s9, v5, vcc_lo
	global_load_b128 v[4:7], v[12:13], off
	s_waitcnt vmcnt(0)
	v_fma_f64 v[0:1], v[8:9], v[4:5], v[0:1]
	v_fma_f64 v[2:3], v[10:11], v[4:5], v[2:3]
	v_fma_f64 v[0:1], -v[10:11], v[6:7], v[0:1]
	s_delay_alu instid0(VALU_DEP_2)
	v_fma_f64 v[2:3], v[8:9], v[6:7], v[2:3]
	global_store_b128 v[12:13], v[0:3], off
.LBB129_31:
	s_nop 0
	s_sendmsg sendmsg(MSG_DEALLOC_VGPRS)
	s_endpgm
	.section	.rodata,"a",@progbits
	.p2align	6, 0x0
	.amdhsa_kernel _ZN9rocsparseL22gebsrmvn_mxn_16_kernelILj64ELj16ELj2E21rocsparse_complex_numIdEEEvi20rocsparse_direction_NS_24const_host_device_scalarIT2_EEPKiS8_PKS5_iiSA_S6_PS5_21rocsparse_index_base_b
		.amdhsa_group_segment_fixed_size 2048
		.amdhsa_private_segment_fixed_size 0
		.amdhsa_kernarg_size 96
		.amdhsa_user_sgpr_count 15
		.amdhsa_user_sgpr_dispatch_ptr 1
		.amdhsa_user_sgpr_queue_ptr 0
		.amdhsa_user_sgpr_kernarg_segment_ptr 1
		.amdhsa_user_sgpr_dispatch_id 0
		.amdhsa_user_sgpr_private_segment_size 0
		.amdhsa_wavefront_size32 1
		.amdhsa_uses_dynamic_stack 0
		.amdhsa_enable_private_segment 0
		.amdhsa_system_sgpr_workgroup_id_x 1
		.amdhsa_system_sgpr_workgroup_id_y 0
		.amdhsa_system_sgpr_workgroup_id_z 0
		.amdhsa_system_sgpr_workgroup_info 0
		.amdhsa_system_vgpr_workitem_id 2
		.amdhsa_next_free_vgpr 28
		.amdhsa_next_free_sgpr 18
		.amdhsa_reserve_vcc 1
		.amdhsa_float_round_mode_32 0
		.amdhsa_float_round_mode_16_64 0
		.amdhsa_float_denorm_mode_32 3
		.amdhsa_float_denorm_mode_16_64 3
		.amdhsa_dx10_clamp 1
		.amdhsa_ieee_mode 1
		.amdhsa_fp16_overflow 0
		.amdhsa_workgroup_processor_mode 1
		.amdhsa_memory_ordered 1
		.amdhsa_forward_progress 0
		.amdhsa_shared_vgpr_count 0
		.amdhsa_exception_fp_ieee_invalid_op 0
		.amdhsa_exception_fp_denorm_src 0
		.amdhsa_exception_fp_ieee_div_zero 0
		.amdhsa_exception_fp_ieee_overflow 0
		.amdhsa_exception_fp_ieee_underflow 0
		.amdhsa_exception_fp_ieee_inexact 0
		.amdhsa_exception_int_div_zero 0
	.end_amdhsa_kernel
	.section	.text._ZN9rocsparseL22gebsrmvn_mxn_16_kernelILj64ELj16ELj2E21rocsparse_complex_numIdEEEvi20rocsparse_direction_NS_24const_host_device_scalarIT2_EEPKiS8_PKS5_iiSA_S6_PS5_21rocsparse_index_base_b,"axG",@progbits,_ZN9rocsparseL22gebsrmvn_mxn_16_kernelILj64ELj16ELj2E21rocsparse_complex_numIdEEEvi20rocsparse_direction_NS_24const_host_device_scalarIT2_EEPKiS8_PKS5_iiSA_S6_PS5_21rocsparse_index_base_b,comdat
.Lfunc_end129:
	.size	_ZN9rocsparseL22gebsrmvn_mxn_16_kernelILj64ELj16ELj2E21rocsparse_complex_numIdEEEvi20rocsparse_direction_NS_24const_host_device_scalarIT2_EEPKiS8_PKS5_iiSA_S6_PS5_21rocsparse_index_base_b, .Lfunc_end129-_ZN9rocsparseL22gebsrmvn_mxn_16_kernelILj64ELj16ELj2E21rocsparse_complex_numIdEEEvi20rocsparse_direction_NS_24const_host_device_scalarIT2_EEPKiS8_PKS5_iiSA_S6_PS5_21rocsparse_index_base_b
                                        ; -- End function
	.section	.AMDGPU.csdata,"",@progbits
; Kernel info:
; codeLenInByte = 1396
; NumSgprs: 20
; NumVgprs: 28
; ScratchSize: 0
; MemoryBound: 0
; FloatMode: 240
; IeeeMode: 1
; LDSByteSize: 2048 bytes/workgroup (compile time only)
; SGPRBlocks: 2
; VGPRBlocks: 3
; NumSGPRsForWavesPerEU: 20
; NumVGPRsForWavesPerEU: 28
; Occupancy: 16
; WaveLimiterHint : 1
; COMPUTE_PGM_RSRC2:SCRATCH_EN: 0
; COMPUTE_PGM_RSRC2:USER_SGPR: 15
; COMPUTE_PGM_RSRC2:TRAP_HANDLER: 0
; COMPUTE_PGM_RSRC2:TGID_X_EN: 1
; COMPUTE_PGM_RSRC2:TGID_Y_EN: 0
; COMPUTE_PGM_RSRC2:TGID_Z_EN: 0
; COMPUTE_PGM_RSRC2:TIDIG_COMP_CNT: 2
	.section	.text._ZN9rocsparseL22gebsrmvn_mxn_16_kernelILj48ELj16ELj3E21rocsparse_complex_numIdEEEvi20rocsparse_direction_NS_24const_host_device_scalarIT2_EEPKiS8_PKS5_iiSA_S6_PS5_21rocsparse_index_base_b,"axG",@progbits,_ZN9rocsparseL22gebsrmvn_mxn_16_kernelILj48ELj16ELj3E21rocsparse_complex_numIdEEEvi20rocsparse_direction_NS_24const_host_device_scalarIT2_EEPKiS8_PKS5_iiSA_S6_PS5_21rocsparse_index_base_b,comdat
	.globl	_ZN9rocsparseL22gebsrmvn_mxn_16_kernelILj48ELj16ELj3E21rocsparse_complex_numIdEEEvi20rocsparse_direction_NS_24const_host_device_scalarIT2_EEPKiS8_PKS5_iiSA_S6_PS5_21rocsparse_index_base_b ; -- Begin function _ZN9rocsparseL22gebsrmvn_mxn_16_kernelILj48ELj16ELj3E21rocsparse_complex_numIdEEEvi20rocsparse_direction_NS_24const_host_device_scalarIT2_EEPKiS8_PKS5_iiSA_S6_PS5_21rocsparse_index_base_b
	.p2align	8
	.type	_ZN9rocsparseL22gebsrmvn_mxn_16_kernelILj48ELj16ELj3E21rocsparse_complex_numIdEEEvi20rocsparse_direction_NS_24const_host_device_scalarIT2_EEPKiS8_PKS5_iiSA_S6_PS5_21rocsparse_index_base_b,@function
_ZN9rocsparseL22gebsrmvn_mxn_16_kernelILj48ELj16ELj3E21rocsparse_complex_numIdEEEvi20rocsparse_direction_NS_24const_host_device_scalarIT2_EEPKiS8_PKS5_iiSA_S6_PS5_21rocsparse_index_base_b: ; @_ZN9rocsparseL22gebsrmvn_mxn_16_kernelILj48ELj16ELj3E21rocsparse_complex_numIdEEEvi20rocsparse_direction_NS_24const_host_device_scalarIT2_EEPKiS8_PKS5_iiSA_S6_PS5_21rocsparse_index_base_b
; %bb.0:
	s_mov_b32 s12, s15
	s_load_b64 s[14:15], s[2:3], 0x58
	s_load_b64 s[16:17], s[0:1], 0x4
	s_load_b128 s[8:11], s[2:3], 0x8
	v_bfe_u32 v1, v0, 10, 10
	s_mov_b64 s[0:1], src_shared_base
	s_load_b128 s[4:7], s[2:3], 0x40
	v_and_b32_e32 v8, 0x3ff, v0
	v_bfe_u32 v0, v0, 20, 10
	s_waitcnt lgkmcnt(0)
	s_bitcmp1_b32 s15, 0
	v_mul_u32_u24_e32 v1, s17, v1
	s_cselect_b32 s0, -1, 0
	v_mov_b32_e32 v16, s11
	s_and_b32 vcc_lo, s0, exec_lo
	s_cselect_b32 s13, s1, s9
	s_lshr_b32 s15, s16, 16
	v_dual_mov_b32 v2, s4 :: v_dual_mov_b32 v15, s10
	s_mul_i32 s15, s15, s17
	s_xor_b32 s10, s0, -1
	v_mad_u32_u24 v1, s15, v8, v1
	v_mov_b32_e32 v5, s13
	v_mov_b32_e32 v3, s5
	s_delay_alu instid0(VALU_DEP_3) | instskip(SKIP_1) | instid1(VALU_DEP_2)
	v_add_lshl_u32 v6, v1, v0, 3
	v_dual_mov_b32 v0, s8 :: v_dual_mov_b32 v1, s9
	v_add_nc_u32_e32 v4, 0x480, v6
	ds_store_2addr_b64 v6, v[2:3], v[0:1] offset0:96 offset1:144
	v_add_nc_u32_e32 v0, 0x300, v6
	v_cndmask_b32_e64 v4, s8, v4, s0
	flat_load_b64 v[13:14], v[4:5]
	s_cbranch_vccnz .LBB130_2
; %bb.1:
	v_dual_mov_b32 v1, s8 :: v_dual_mov_b32 v2, s9
	flat_load_b64 v[15:16], v[1:2] offset:8
.LBB130_2:
	s_and_b32 s8, s0, exec_lo
	s_cselect_b32 s1, s1, s5
	v_cndmask_b32_e64 v0, s4, v0, s0
	v_dual_mov_b32 v1, s1 :: v_dual_mov_b32 v12, s7
	v_mov_b32_e32 v11, s6
	s_and_not1_b32 vcc_lo, exec_lo, s10
	flat_load_b64 v[9:10], v[0:1]
	s_cbranch_vccnz .LBB130_4
; %bb.3:
	v_dual_mov_b32 v0, s4 :: v_dual_mov_b32 v1, s5
	flat_load_b64 v[11:12], v[0:1] offset:8
.LBB130_4:
	s_waitcnt vmcnt(1) lgkmcnt(1)
	v_cmp_eq_f64_e32 vcc_lo, 0, v[13:14]
	v_cmp_eq_f64_e64 s0, 0, v[15:16]
	s_delay_alu instid0(VALU_DEP_1)
	s_and_b32 s4, vcc_lo, s0
	s_mov_b32 s0, -1
	s_and_saveexec_b32 s1, s4
	s_cbranch_execz .LBB130_6
; %bb.5:
	s_waitcnt vmcnt(0) lgkmcnt(0)
	v_cmp_neq_f64_e32 vcc_lo, 1.0, v[9:10]
	v_cmp_neq_f64_e64 s0, 0, v[11:12]
	s_delay_alu instid0(VALU_DEP_1) | instskip(NEXT) | instid1(SALU_CYCLE_1)
	s_or_b32 s0, vcc_lo, s0
	s_or_not1_b32 s0, s0, exec_lo
.LBB130_6:
	s_or_b32 exec_lo, exec_lo, s1
	s_and_saveexec_b32 s1, s0
	s_cbranch_execz .LBB130_33
; %bb.7:
	s_clause 0x1
	s_load_b32 s4, s[2:3], 0x4
	s_load_b64 s[0:1], s[2:3], 0x18
	v_mul_u32_u24_e32 v0, 0x5556, v8
	s_load_b64 s[8:9], s[2:3], 0x50
	v_mov_b32_e32 v2, 0
	v_mov_b32_e32 v3, 0
	s_delay_alu instid0(VALU_DEP_3) | instskip(NEXT) | instid1(VALU_DEP_1)
	v_lshrrev_b32_e32 v0, 16, v0
	v_mul_lo_u16 v0, v0, 3
	s_delay_alu instid0(VALU_DEP_1) | instskip(NEXT) | instid1(VALU_DEP_4)
	v_sub_nc_u16 v7, v8, v0
	v_dual_mov_b32 v0, v2 :: v_dual_mov_b32 v1, v3
	s_waitcnt lgkmcnt(0)
	s_cmp_eq_u32 s4, 1
	s_cselect_b32 vcc_lo, -1, 0
	s_cmp_lg_u32 s4, 1
	s_cselect_b32 s15, -1, 0
	s_ashr_i32 s13, s12, 31
	s_delay_alu instid0(SALU_CYCLE_1) | instskip(NEXT) | instid1(SALU_CYCLE_1)
	s_lshl_b64 s[4:5], s[12:13], 2
	s_add_u32 s0, s0, s4
	s_addc_u32 s1, s1, s5
	s_load_b64 s[10:11], s[0:1], 0x0
	s_waitcnt lgkmcnt(0)
	s_cmp_ge_i32 s10, s11
	s_cbranch_scc1 .LBB130_12
; %bb.8:
	v_lshrrev_b32_e32 v2, 4, v8
	s_clause 0x1
	s_load_b128 s[4:7], s[2:3], 0x20
	s_load_b64 s[0:1], s[2:3], 0x38
	v_and_b32_e32 v4, 0xffff, v8
	v_dual_mov_b32 v5, 0 :: v_dual_and_b32 v6, 0xffff, v7
	v_mul_lo_u16 v0, 0x56, v2
	s_mul_i32 s2, s14, 48
	s_sub_i32 s3, s10, s14
	s_delay_alu instid0(VALU_DEP_1) | instskip(NEXT) | instid1(VALU_DEP_1)
	v_lshrrev_b16 v0, 8, v0
	v_mul_lo_u16 v3, v0, 3
	s_waitcnt vmcnt(0)
	v_mad_u64_u32 v[0:1], null, s10, 48, v[8:9]
	s_delay_alu instid0(VALU_DEP_2)
	v_sub_nc_u16 v1, v2, v3
	v_mov_b32_e32 v2, 0
	v_mov_b32_e32 v3, 0
	v_mul_u32_u24_e32 v17, 0x556, v4
	v_subrev_nc_u32_e32 v4, s2, v0
	v_and_b32_e32 v1, 0xff, v1
	s_sub_i32 s2, s11, s14
	s_delay_alu instid0(VALU_DEP_3) | instskip(NEXT) | instid1(VALU_DEP_2)
	v_lshrrev_b32_e32 v19, 16, v17
	v_cndmask_b32_e32 v6, v6, v1, vcc_lo
	v_dual_mov_b32 v0, v2 :: v_dual_mov_b32 v1, v3
	s_set_inst_prefetch_distance 0x1
	s_branch .LBB130_10
	.p2align	6
.LBB130_9:                              ;   in Loop: Header=BB130_10 Depth=1
	s_or_b32 exec_lo, exec_lo, s10
	v_add_nc_u32_e32 v4, 48, v4
	s_add_i32 s3, s3, 1
	s_delay_alu instid0(SALU_CYCLE_1)
	s_cmp_ge_i32 s3, s2
	s_cbranch_scc1 .LBB130_12
.LBB130_10:                             ; =>This Inner Loop Header: Depth=1
	v_add_nc_u32_e32 v17, s3, v19
	s_mov_b32 s10, exec_lo
	s_delay_alu instid0(VALU_DEP_1)
	v_cmpx_gt_i32_e64 s2, v17
	s_cbranch_execz .LBB130_9
; %bb.11:                               ;   in Loop: Header=BB130_10 Depth=1
	v_ashrrev_i32_e32 v18, 31, v17
	s_delay_alu instid0(VALU_DEP_1) | instskip(SKIP_1) | instid1(VALU_DEP_1)
	v_lshlrev_b64 v[17:18], 2, v[17:18]
	s_waitcnt lgkmcnt(0)
	v_add_co_u32 v17, vcc_lo, s4, v17
	s_delay_alu instid0(VALU_DEP_2) | instskip(SKIP_3) | instid1(VALU_DEP_1)
	v_add_co_ci_u32_e32 v18, vcc_lo, s5, v18, vcc_lo
	global_load_b32 v17, v[17:18], off
	s_waitcnt vmcnt(0)
	v_subrev_nc_u32_e32 v20, s14, v17
	v_mad_u64_u32 v[17:18], null, v20, 3, v[6:7]
	v_lshlrev_b64 v[20:21], 4, v[4:5]
	s_delay_alu instid0(VALU_DEP_1) | instskip(NEXT) | instid1(VALU_DEP_3)
	v_add_co_u32 v20, vcc_lo, s6, v20
	v_ashrrev_i32_e32 v18, 31, v17
	s_delay_alu instid0(VALU_DEP_3) | instskip(NEXT) | instid1(VALU_DEP_2)
	v_add_co_ci_u32_e32 v21, vcc_lo, s7, v21, vcc_lo
	v_lshlrev_b64 v[17:18], 4, v[17:18]
	s_delay_alu instid0(VALU_DEP_1) | instskip(NEXT) | instid1(VALU_DEP_2)
	v_add_co_u32 v17, vcc_lo, s0, v17
	v_add_co_ci_u32_e32 v18, vcc_lo, s1, v18, vcc_lo
	global_load_b128 v[20:23], v[20:21], off
	global_load_b128 v[24:27], v[17:18], off
	s_waitcnt vmcnt(0)
	v_fma_f64 v[0:1], v[20:21], v[24:25], v[0:1]
	v_fma_f64 v[2:3], v[22:23], v[24:25], v[2:3]
	s_delay_alu instid0(VALU_DEP_2) | instskip(NEXT) | instid1(VALU_DEP_2)
	v_fma_f64 v[0:1], -v[22:23], v[26:27], v[0:1]
	v_fma_f64 v[2:3], v[20:21], v[26:27], v[2:3]
	s_branch .LBB130_9
.LBB130_12:
	s_set_inst_prefetch_distance 0x2
	v_lshlrev_b32_e32 v17, 4, v8
	s_and_b32 vcc_lo, exec_lo, s15
	ds_store_b128 v17, v[0:3]
	s_waitcnt vmcnt(0) lgkmcnt(0)
	s_barrier
	buffer_gl0_inv
	s_cbranch_vccz .LBB130_20
; %bb.13:
	v_cmp_eq_u16_e32 vcc_lo, 0, v7
	s_and_saveexec_b32 s0, vcc_lo
	s_cbranch_execz .LBB130_15
; %bb.14:
	ds_load_b128 v[4:7], v17
	ds_load_b128 v[18:21], v17 offset:32
	s_waitcnt lgkmcnt(0)
	v_add_f64 v[4:5], v[18:19], v[4:5]
	v_add_f64 v[6:7], v[20:21], v[6:7]
	ds_store_b128 v17, v[4:7]
.LBB130_15:
	s_or_b32 exec_lo, exec_lo, s0
	s_waitcnt lgkmcnt(0)
	s_barrier
	buffer_gl0_inv
	s_and_saveexec_b32 s0, vcc_lo
	s_cbranch_execz .LBB130_17
; %bb.16:
	ds_load_b128 v[4:7], v17
	ds_load_b128 v[18:21], v17 offset:16
	s_waitcnt lgkmcnt(0)
	v_add_f64 v[4:5], v[18:19], v[4:5]
	v_add_f64 v[6:7], v[20:21], v[6:7]
	ds_store_b128 v17, v[4:7]
.LBB130_17:
	s_or_b32 exec_lo, exec_lo, s0
	v_dual_mov_b32 v7, v3 :: v_dual_mov_b32 v6, v2
	v_dual_mov_b32 v5, v1 :: v_dual_mov_b32 v4, v0
	s_mov_b32 s0, exec_lo
	s_waitcnt lgkmcnt(0)
	s_barrier
	buffer_gl0_inv
	v_cmpx_gt_u32_e32 16, v8
	s_cbranch_execz .LBB130_19
; %bb.18:
	v_lshl_add_u32 v4, v8, 5, v17
	ds_load_b128 v[4:7], v4
.LBB130_19:
	s_or_b32 exec_lo, exec_lo, s0
	v_cmp_gt_u32_e64 s0, 16, v8
	s_branch .LBB130_28
.LBB130_20:
                                        ; implicit-def: $vgpr6_vgpr7
	v_cmp_gt_u32_e64 s0, 16, v8
	s_cbranch_execz .LBB130_28
; %bb.21:
	v_cmp_lt_u32_e32 vcc_lo, 15, v8
	s_delay_alu instid0(VALU_DEP_2)
	s_and_saveexec_b32 s1, s0
	s_cbranch_execz .LBB130_23
; %bb.22:
	s_waitcnt lgkmcnt(0)
	ds_load_b128 v[4:7], v17 offset:512
	ds_load_b128 v[18:21], v17
	s_waitcnt lgkmcnt(0)
	v_add_f64 v[4:5], v[4:5], v[18:19]
	v_add_f64 v[6:7], v[6:7], v[20:21]
	ds_store_b128 v17, v[4:7]
.LBB130_23:
	s_or_b32 exec_lo, exec_lo, s1
	s_waitcnt lgkmcnt(0)
	s_barrier
	buffer_gl0_inv
	s_and_saveexec_b32 s0, vcc_lo
	s_delay_alu instid0(SALU_CYCLE_1)
	s_xor_b32 s0, exec_lo, s0
	s_cbranch_execz .LBB130_25
; %bb.24:
	buffer_gl0_inv
                                        ; implicit-def: $vgpr17
.LBB130_25:
	s_and_not1_saveexec_b32 s0, s0
	s_cbranch_execz .LBB130_27
; %bb.26:
	ds_load_b128 v[0:3], v17 offset:256
	ds_load_b128 v[4:7], v17
	s_waitcnt lgkmcnt(0)
	v_add_f64 v[0:1], v[0:1], v[4:5]
	v_add_f64 v[2:3], v[2:3], v[6:7]
	ds_store_b128 v17, v[0:3]
	s_waitcnt lgkmcnt(0)
	buffer_gl0_inv
	ds_load_b128 v[0:3], v17
.LBB130_27:
	s_or_b32 exec_lo, exec_lo, s0
	s_waitcnt lgkmcnt(0)
	v_dual_mov_b32 v7, v3 :: v_dual_mov_b32 v6, v2
	v_dual_mov_b32 v5, v1 :: v_dual_mov_b32 v4, v0
.LBB130_28:
	v_cmp_gt_u32_e32 vcc_lo, 16, v8
	s_and_b32 exec_lo, exec_lo, vcc_lo
	s_cbranch_execz .LBB130_33
; %bb.29:
	s_waitcnt lgkmcnt(0)
	v_mul_f64 v[0:1], v[6:7], -v[15:16]
	v_mul_f64 v[2:3], v[13:14], v[6:7]
	v_cmp_eq_f64_e32 vcc_lo, 0, v[9:10]
	v_cmp_eq_f64_e64 s0, 0, v[11:12]
	s_delay_alu instid0(VALU_DEP_4) | instskip(NEXT) | instid1(VALU_DEP_4)
	v_fma_f64 v[0:1], v[13:14], v[4:5], v[0:1]
	v_fma_f64 v[2:3], v[15:16], v[4:5], v[2:3]
	v_lshl_or_b32 v4, s12, 4, v8
	s_delay_alu instid0(VALU_DEP_4) | instskip(NEXT) | instid1(SALU_CYCLE_1)
	s_and_b32 s0, vcc_lo, s0
	s_and_saveexec_b32 s1, s0
	s_delay_alu instid0(SALU_CYCLE_1)
	s_xor_b32 s0, exec_lo, s1
	s_cbranch_execz .LBB130_31
; %bb.30:
	v_mov_b32_e32 v5, 0
                                        ; implicit-def: $vgpr9_vgpr10
                                        ; implicit-def: $vgpr11_vgpr12
	s_delay_alu instid0(VALU_DEP_1) | instskip(NEXT) | instid1(VALU_DEP_1)
	v_lshlrev_b64 v[4:5], 4, v[4:5]
	v_add_co_u32 v4, vcc_lo, s8, v4
	s_delay_alu instid0(VALU_DEP_2)
	v_add_co_ci_u32_e32 v5, vcc_lo, s9, v5, vcc_lo
	global_store_b128 v[4:5], v[0:3], off
                                        ; implicit-def: $vgpr4
                                        ; implicit-def: $vgpr0_vgpr1
.LBB130_31:
	s_and_not1_saveexec_b32 s0, s0
	s_cbranch_execz .LBB130_33
; %bb.32:
	v_mov_b32_e32 v5, 0
	s_delay_alu instid0(VALU_DEP_1) | instskip(NEXT) | instid1(VALU_DEP_1)
	v_lshlrev_b64 v[4:5], 4, v[4:5]
	v_add_co_u32 v13, vcc_lo, s8, v4
	s_delay_alu instid0(VALU_DEP_2) | instskip(SKIP_4) | instid1(VALU_DEP_2)
	v_add_co_ci_u32_e32 v14, vcc_lo, s9, v5, vcc_lo
	global_load_b128 v[4:7], v[13:14], off
	s_waitcnt vmcnt(0)
	v_fma_f64 v[0:1], v[9:10], v[4:5], v[0:1]
	v_fma_f64 v[2:3], v[11:12], v[4:5], v[2:3]
	v_fma_f64 v[0:1], -v[11:12], v[6:7], v[0:1]
	s_delay_alu instid0(VALU_DEP_2)
	v_fma_f64 v[2:3], v[9:10], v[6:7], v[2:3]
	global_store_b128 v[13:14], v[0:3], off
.LBB130_33:
	s_nop 0
	s_sendmsg sendmsg(MSG_DEALLOC_VGPRS)
	s_endpgm
	.section	.rodata,"a",@progbits
	.p2align	6, 0x0
	.amdhsa_kernel _ZN9rocsparseL22gebsrmvn_mxn_16_kernelILj48ELj16ELj3E21rocsparse_complex_numIdEEEvi20rocsparse_direction_NS_24const_host_device_scalarIT2_EEPKiS8_PKS5_iiSA_S6_PS5_21rocsparse_index_base_b
		.amdhsa_group_segment_fixed_size 1536
		.amdhsa_private_segment_fixed_size 0
		.amdhsa_kernarg_size 96
		.amdhsa_user_sgpr_count 15
		.amdhsa_user_sgpr_dispatch_ptr 1
		.amdhsa_user_sgpr_queue_ptr 0
		.amdhsa_user_sgpr_kernarg_segment_ptr 1
		.amdhsa_user_sgpr_dispatch_id 0
		.amdhsa_user_sgpr_private_segment_size 0
		.amdhsa_wavefront_size32 1
		.amdhsa_uses_dynamic_stack 0
		.amdhsa_enable_private_segment 0
		.amdhsa_system_sgpr_workgroup_id_x 1
		.amdhsa_system_sgpr_workgroup_id_y 0
		.amdhsa_system_sgpr_workgroup_id_z 0
		.amdhsa_system_sgpr_workgroup_info 0
		.amdhsa_system_vgpr_workitem_id 2
		.amdhsa_next_free_vgpr 28
		.amdhsa_next_free_sgpr 18
		.amdhsa_reserve_vcc 1
		.amdhsa_float_round_mode_32 0
		.amdhsa_float_round_mode_16_64 0
		.amdhsa_float_denorm_mode_32 3
		.amdhsa_float_denorm_mode_16_64 3
		.amdhsa_dx10_clamp 1
		.amdhsa_ieee_mode 1
		.amdhsa_fp16_overflow 0
		.amdhsa_workgroup_processor_mode 1
		.amdhsa_memory_ordered 1
		.amdhsa_forward_progress 0
		.amdhsa_shared_vgpr_count 0
		.amdhsa_exception_fp_ieee_invalid_op 0
		.amdhsa_exception_fp_denorm_src 0
		.amdhsa_exception_fp_ieee_div_zero 0
		.amdhsa_exception_fp_ieee_overflow 0
		.amdhsa_exception_fp_ieee_underflow 0
		.amdhsa_exception_fp_ieee_inexact 0
		.amdhsa_exception_int_div_zero 0
	.end_amdhsa_kernel
	.section	.text._ZN9rocsparseL22gebsrmvn_mxn_16_kernelILj48ELj16ELj3E21rocsparse_complex_numIdEEEvi20rocsparse_direction_NS_24const_host_device_scalarIT2_EEPKiS8_PKS5_iiSA_S6_PS5_21rocsparse_index_base_b,"axG",@progbits,_ZN9rocsparseL22gebsrmvn_mxn_16_kernelILj48ELj16ELj3E21rocsparse_complex_numIdEEEvi20rocsparse_direction_NS_24const_host_device_scalarIT2_EEPKiS8_PKS5_iiSA_S6_PS5_21rocsparse_index_base_b,comdat
.Lfunc_end130:
	.size	_ZN9rocsparseL22gebsrmvn_mxn_16_kernelILj48ELj16ELj3E21rocsparse_complex_numIdEEEvi20rocsparse_direction_NS_24const_host_device_scalarIT2_EEPKiS8_PKS5_iiSA_S6_PS5_21rocsparse_index_base_b, .Lfunc_end130-_ZN9rocsparseL22gebsrmvn_mxn_16_kernelILj48ELj16ELj3E21rocsparse_complex_numIdEEEvi20rocsparse_direction_NS_24const_host_device_scalarIT2_EEPKiS8_PKS5_iiSA_S6_PS5_21rocsparse_index_base_b
                                        ; -- End function
	.section	.AMDGPU.csdata,"",@progbits
; Kernel info:
; codeLenInByte = 1584
; NumSgprs: 20
; NumVgprs: 28
; ScratchSize: 0
; MemoryBound: 0
; FloatMode: 240
; IeeeMode: 1
; LDSByteSize: 1536 bytes/workgroup (compile time only)
; SGPRBlocks: 2
; VGPRBlocks: 3
; NumSGPRsForWavesPerEU: 20
; NumVGPRsForWavesPerEU: 28
; Occupancy: 16
; WaveLimiterHint : 1
; COMPUTE_PGM_RSRC2:SCRATCH_EN: 0
; COMPUTE_PGM_RSRC2:USER_SGPR: 15
; COMPUTE_PGM_RSRC2:TRAP_HANDLER: 0
; COMPUTE_PGM_RSRC2:TGID_X_EN: 1
; COMPUTE_PGM_RSRC2:TGID_Y_EN: 0
; COMPUTE_PGM_RSRC2:TGID_Z_EN: 0
; COMPUTE_PGM_RSRC2:TIDIG_COMP_CNT: 2
	.section	.text._ZN9rocsparseL22gebsrmvn_mxn_16_kernelILj64ELj16ELj4E21rocsparse_complex_numIdEEEvi20rocsparse_direction_NS_24const_host_device_scalarIT2_EEPKiS8_PKS5_iiSA_S6_PS5_21rocsparse_index_base_b,"axG",@progbits,_ZN9rocsparseL22gebsrmvn_mxn_16_kernelILj64ELj16ELj4E21rocsparse_complex_numIdEEEvi20rocsparse_direction_NS_24const_host_device_scalarIT2_EEPKiS8_PKS5_iiSA_S6_PS5_21rocsparse_index_base_b,comdat
	.globl	_ZN9rocsparseL22gebsrmvn_mxn_16_kernelILj64ELj16ELj4E21rocsparse_complex_numIdEEEvi20rocsparse_direction_NS_24const_host_device_scalarIT2_EEPKiS8_PKS5_iiSA_S6_PS5_21rocsparse_index_base_b ; -- Begin function _ZN9rocsparseL22gebsrmvn_mxn_16_kernelILj64ELj16ELj4E21rocsparse_complex_numIdEEEvi20rocsparse_direction_NS_24const_host_device_scalarIT2_EEPKiS8_PKS5_iiSA_S6_PS5_21rocsparse_index_base_b
	.p2align	8
	.type	_ZN9rocsparseL22gebsrmvn_mxn_16_kernelILj64ELj16ELj4E21rocsparse_complex_numIdEEEvi20rocsparse_direction_NS_24const_host_device_scalarIT2_EEPKiS8_PKS5_iiSA_S6_PS5_21rocsparse_index_base_b,@function
_ZN9rocsparseL22gebsrmvn_mxn_16_kernelILj64ELj16ELj4E21rocsparse_complex_numIdEEEvi20rocsparse_direction_NS_24const_host_device_scalarIT2_EEPKiS8_PKS5_iiSA_S6_PS5_21rocsparse_index_base_b: ; @_ZN9rocsparseL22gebsrmvn_mxn_16_kernelILj64ELj16ELj4E21rocsparse_complex_numIdEEEvi20rocsparse_direction_NS_24const_host_device_scalarIT2_EEPKiS8_PKS5_iiSA_S6_PS5_21rocsparse_index_base_b
; %bb.0:
	s_mov_b32 s12, s15
	s_load_b64 s[14:15], s[2:3], 0x58
	s_load_b64 s[16:17], s[0:1], 0x4
	s_load_b128 s[8:11], s[2:3], 0x8
	v_bfe_u32 v1, v0, 10, 10
	s_mov_b64 s[0:1], src_shared_base
	s_load_b128 s[4:7], s[2:3], 0x40
	v_and_b32_e32 v16, 0x3ff, v0
	v_bfe_u32 v0, v0, 20, 10
	s_waitcnt lgkmcnt(0)
	s_bitcmp1_b32 s15, 0
	v_mul_u32_u24_e32 v1, s17, v1
	s_cselect_b32 s0, -1, 0
	v_mov_b32_e32 v15, s11
	s_and_b32 vcc_lo, s0, exec_lo
	s_cselect_b32 s13, s1, s9
	s_lshr_b32 s15, s16, 16
	v_mov_b32_e32 v2, s4
	s_mul_i32 s15, s15, s17
	v_mov_b32_e32 v14, s10
	v_mad_u32_u24 v1, s15, v16, v1
	s_xor_b32 s10, s0, -1
	v_mov_b32_e32 v5, s13
	v_mov_b32_e32 v3, s5
	s_delay_alu instid0(VALU_DEP_3) | instskip(SKIP_1) | instid1(VALU_DEP_2)
	v_add_lshl_u32 v6, v1, v0, 3
	v_dual_mov_b32 v0, s8 :: v_dual_mov_b32 v1, s9
	v_add_nc_u32_e32 v4, 0x600, v6
	ds_store_2addr_stride64_b64 v6, v[2:3], v[0:1] offset0:2 offset1:3
	v_add_nc_u32_e32 v0, 0x400, v6
	v_cndmask_b32_e64 v4, s8, v4, s0
	flat_load_b64 v[12:13], v[4:5]
	s_cbranch_vccnz .LBB131_2
; %bb.1:
	v_dual_mov_b32 v1, s8 :: v_dual_mov_b32 v2, s9
	flat_load_b64 v[14:15], v[1:2] offset:8
.LBB131_2:
	s_and_b32 s8, s0, exec_lo
	s_cselect_b32 s1, s1, s5
	v_cndmask_b32_e64 v0, s4, v0, s0
	v_mov_b32_e32 v1, s1
	v_dual_mov_b32 v11, s7 :: v_dual_mov_b32 v10, s6
	s_and_not1_b32 vcc_lo, exec_lo, s10
	flat_load_b64 v[8:9], v[0:1]
	s_cbranch_vccnz .LBB131_4
; %bb.3:
	v_dual_mov_b32 v0, s4 :: v_dual_mov_b32 v1, s5
	flat_load_b64 v[10:11], v[0:1] offset:8
.LBB131_4:
	s_waitcnt vmcnt(1) lgkmcnt(1)
	v_cmp_eq_f64_e32 vcc_lo, 0, v[12:13]
	v_cmp_eq_f64_e64 s0, 0, v[14:15]
	s_delay_alu instid0(VALU_DEP_1)
	s_and_b32 s4, vcc_lo, s0
	s_mov_b32 s0, -1
	s_and_saveexec_b32 s1, s4
	s_cbranch_execz .LBB131_6
; %bb.5:
	s_waitcnt vmcnt(0) lgkmcnt(0)
	v_cmp_neq_f64_e32 vcc_lo, 1.0, v[8:9]
	v_cmp_neq_f64_e64 s0, 0, v[10:11]
	s_delay_alu instid0(VALU_DEP_1) | instskip(NEXT) | instid1(SALU_CYCLE_1)
	s_or_b32 s0, vcc_lo, s0
	s_or_not1_b32 s0, s0, exec_lo
.LBB131_6:
	s_or_b32 exec_lo, exec_lo, s1
	s_and_saveexec_b32 s1, s0
	s_cbranch_execz .LBB131_33
; %bb.7:
	s_clause 0x1
	s_load_b32 s4, s[2:3], 0x4
	s_load_b64 s[0:1], s[2:3], 0x18
	v_mov_b32_e32 v2, 0
	v_dual_mov_b32 v3, 0 :: v_dual_and_b32 v6, 3, v16
	s_delay_alu instid0(VALU_DEP_1)
	v_dual_mov_b32 v0, v2 :: v_dual_mov_b32 v1, v3
	s_waitcnt lgkmcnt(0)
	s_cmp_eq_u32 s4, 1
	s_cselect_b32 vcc_lo, -1, 0
	s_cmp_lg_u32 s4, 1
	s_cselect_b32 s15, -1, 0
	s_ashr_i32 s13, s12, 31
	s_delay_alu instid0(SALU_CYCLE_1) | instskip(NEXT) | instid1(SALU_CYCLE_1)
	s_lshl_b64 s[4:5], s[12:13], 2
	s_add_u32 s0, s0, s4
	s_addc_u32 s1, s1, s5
	s_load_b64 s[10:11], s[0:1], 0x0
	s_load_b64 s[8:9], s[2:3], 0x50
	s_waitcnt lgkmcnt(0)
	s_cmp_ge_i32 s10, s11
	s_cbranch_scc1 .LBB131_12
; %bb.8:
	s_clause 0x1
	s_load_b128 s[4:7], s[2:3], 0x20
	s_load_b64 s[0:1], s[2:3], 0x38
	v_lshrrev_b32_e32 v0, 4, v16
	v_lshl_or_b32 v1, s10, 6, v16
	v_mov_b32_e32 v2, 0
	v_mov_b32_e32 v3, 0
	s_lshl_b32 s2, s14, 6
	v_cndmask_b32_e32 v7, v6, v0, vcc_lo
	v_subrev_nc_u32_e32 v4, s2, v1
	v_dual_mov_b32 v5, 0 :: v_dual_mov_b32 v0, v2
	v_mov_b32_e32 v1, v3
	s_sub_i32 s2, s11, s14
	s_sub_i32 s3, s10, s14
	s_set_inst_prefetch_distance 0x1
	s_branch .LBB131_10
	.p2align	6
.LBB131_9:                              ;   in Loop: Header=BB131_10 Depth=1
	s_or_b32 exec_lo, exec_lo, s10
	v_add_nc_u32_e32 v4, 64, v4
	s_add_i32 s3, s3, 1
	s_delay_alu instid0(SALU_CYCLE_1)
	s_cmp_ge_i32 s3, s2
	s_cbranch_scc1 .LBB131_12
.LBB131_10:                             ; =>This Inner Loop Header: Depth=1
	s_cmp_lt_i32 s3, s2
	s_cselect_b32 s11, -1, 0
	s_delay_alu instid0(SALU_CYCLE_1)
	s_and_saveexec_b32 s10, s11
	s_cbranch_execz .LBB131_9
; %bb.11:                               ;   in Loop: Header=BB131_10 Depth=1
	v_mov_b32_e32 v17, s3
	v_ashrrev_i32_e64 v18, 31, s3
	v_lshlrev_b64 v[19:20], 4, v[4:5]
	s_delay_alu instid0(VALU_DEP_2) | instskip(SKIP_1) | instid1(VALU_DEP_1)
	v_lshlrev_b64 v[17:18], 2, v[17:18]
	s_waitcnt lgkmcnt(0)
	v_add_co_u32 v17, vcc_lo, s4, v17
	s_delay_alu instid0(VALU_DEP_2) | instskip(NEXT) | instid1(VALU_DEP_4)
	v_add_co_ci_u32_e32 v18, vcc_lo, s5, v18, vcc_lo
	v_add_co_u32 v19, vcc_lo, s6, v19
	v_add_co_ci_u32_e32 v20, vcc_lo, s7, v20, vcc_lo
	global_load_b32 v17, v[17:18], off
	s_waitcnt vmcnt(0)
	v_subrev_nc_u32_e32 v17, s14, v17
	s_delay_alu instid0(VALU_DEP_1) | instskip(NEXT) | instid1(VALU_DEP_1)
	v_lshl_or_b32 v17, v17, 2, v7
	v_ashrrev_i32_e32 v18, 31, v17
	s_delay_alu instid0(VALU_DEP_1) | instskip(NEXT) | instid1(VALU_DEP_1)
	v_lshlrev_b64 v[17:18], 4, v[17:18]
	v_add_co_u32 v21, vcc_lo, s0, v17
	s_delay_alu instid0(VALU_DEP_2)
	v_add_co_ci_u32_e32 v22, vcc_lo, s1, v18, vcc_lo
	global_load_b128 v[17:20], v[19:20], off
	global_load_b128 v[21:24], v[21:22], off
	s_waitcnt vmcnt(0)
	v_fma_f64 v[0:1], v[17:18], v[21:22], v[0:1]
	v_fma_f64 v[2:3], v[19:20], v[21:22], v[2:3]
	s_delay_alu instid0(VALU_DEP_2) | instskip(NEXT) | instid1(VALU_DEP_2)
	v_fma_f64 v[0:1], -v[19:20], v[23:24], v[0:1]
	v_fma_f64 v[2:3], v[17:18], v[23:24], v[2:3]
	s_branch .LBB131_9
.LBB131_12:
	s_set_inst_prefetch_distance 0x2
	v_lshlrev_b32_e32 v17, 4, v16
	s_and_b32 vcc_lo, exec_lo, s15
	ds_store_b128 v17, v[0:3]
	s_waitcnt vmcnt(0) lgkmcnt(0)
	s_barrier
	buffer_gl0_inv
	s_cbranch_vccz .LBB131_20
; %bb.13:
	s_mov_b32 s0, exec_lo
	v_cmpx_gt_u32_e32 2, v6
	s_cbranch_execz .LBB131_15
; %bb.14:
	ds_load_b128 v[18:21], v17
	ds_load_b128 v[22:25], v17 offset:32
	s_waitcnt lgkmcnt(0)
	v_add_f64 v[18:19], v[22:23], v[18:19]
	v_add_f64 v[20:21], v[24:25], v[20:21]
	ds_store_b128 v17, v[18:21]
.LBB131_15:
	s_or_b32 exec_lo, exec_lo, s0
	s_delay_alu instid0(SALU_CYCLE_1)
	s_mov_b32 s0, exec_lo
	s_waitcnt lgkmcnt(0)
	s_barrier
	buffer_gl0_inv
	v_cmpx_eq_u32_e32 0, v6
	s_cbranch_execz .LBB131_17
; %bb.16:
	ds_load_b128 v[4:7], v17
	ds_load_b128 v[18:21], v17 offset:16
	s_waitcnt lgkmcnt(0)
	v_add_f64 v[4:5], v[18:19], v[4:5]
	v_add_f64 v[6:7], v[20:21], v[6:7]
	ds_store_b128 v17, v[4:7]
.LBB131_17:
	s_or_b32 exec_lo, exec_lo, s0
	v_dual_mov_b32 v7, v3 :: v_dual_mov_b32 v6, v2
	v_dual_mov_b32 v5, v1 :: v_dual_mov_b32 v4, v0
	s_mov_b32 s0, exec_lo
	s_waitcnt lgkmcnt(0)
	s_barrier
	buffer_gl0_inv
	v_cmpx_gt_u32_e32 16, v16
	s_cbranch_execz .LBB131_19
; %bb.18:
	v_mad_u32_u24 v4, v16, 48, v17
	ds_load_b128 v[4:7], v4
.LBB131_19:
	s_or_b32 exec_lo, exec_lo, s0
	s_branch .LBB131_28
.LBB131_20:
                                        ; implicit-def: $vgpr6_vgpr7
	s_cbranch_execz .LBB131_28
; %bb.21:
	s_mov_b32 s0, exec_lo
	v_cmpx_gt_u32_e32 32, v16
	s_cbranch_execz .LBB131_23
; %bb.22:
	s_waitcnt lgkmcnt(0)
	ds_load_b128 v[4:7], v17 offset:512
	ds_load_b128 v[18:21], v17
	s_waitcnt lgkmcnt(0)
	v_add_f64 v[4:5], v[4:5], v[18:19]
	v_add_f64 v[6:7], v[6:7], v[20:21]
	ds_store_b128 v17, v[4:7]
.LBB131_23:
	s_or_b32 exec_lo, exec_lo, s0
	s_delay_alu instid0(SALU_CYCLE_1)
	s_mov_b32 s0, exec_lo
	s_waitcnt lgkmcnt(0)
	buffer_gl0_inv
	v_cmpx_lt_u32_e32 15, v16
	s_xor_b32 s0, exec_lo, s0
	s_cbranch_execz .LBB131_25
; %bb.24:
	buffer_gl0_inv
                                        ; implicit-def: $vgpr17
.LBB131_25:
	s_and_not1_saveexec_b32 s0, s0
	s_cbranch_execz .LBB131_27
; %bb.26:
	ds_load_b128 v[0:3], v17 offset:256
	ds_load_b128 v[4:7], v17
	s_waitcnt lgkmcnt(0)
	v_add_f64 v[0:1], v[0:1], v[4:5]
	v_add_f64 v[2:3], v[2:3], v[6:7]
	ds_store_b128 v17, v[0:3]
	s_waitcnt lgkmcnt(0)
	buffer_gl0_inv
	ds_load_b128 v[0:3], v17
.LBB131_27:
	s_or_b32 exec_lo, exec_lo, s0
	s_waitcnt lgkmcnt(0)
	v_dual_mov_b32 v7, v3 :: v_dual_mov_b32 v6, v2
	v_dual_mov_b32 v5, v1 :: v_dual_mov_b32 v4, v0
.LBB131_28:
	v_cmp_gt_u32_e32 vcc_lo, 16, v16
	s_and_b32 exec_lo, exec_lo, vcc_lo
	s_cbranch_execz .LBB131_33
; %bb.29:
	s_waitcnt lgkmcnt(0)
	v_mul_f64 v[0:1], v[6:7], -v[14:15]
	v_mul_f64 v[2:3], v[12:13], v[6:7]
	v_cmp_eq_f64_e32 vcc_lo, 0, v[8:9]
	v_cmp_eq_f64_e64 s0, 0, v[10:11]
	s_delay_alu instid0(VALU_DEP_4) | instskip(NEXT) | instid1(VALU_DEP_4)
	v_fma_f64 v[0:1], v[12:13], v[4:5], v[0:1]
	v_fma_f64 v[2:3], v[14:15], v[4:5], v[2:3]
	v_lshl_or_b32 v4, s12, 4, v16
	s_delay_alu instid0(VALU_DEP_4) | instskip(NEXT) | instid1(SALU_CYCLE_1)
	s_and_b32 s0, vcc_lo, s0
	s_and_saveexec_b32 s1, s0
	s_delay_alu instid0(SALU_CYCLE_1)
	s_xor_b32 s0, exec_lo, s1
	s_cbranch_execz .LBB131_31
; %bb.30:
	v_mov_b32_e32 v5, 0
                                        ; implicit-def: $vgpr8_vgpr9
                                        ; implicit-def: $vgpr10_vgpr11
	s_delay_alu instid0(VALU_DEP_1) | instskip(NEXT) | instid1(VALU_DEP_1)
	v_lshlrev_b64 v[4:5], 4, v[4:5]
	v_add_co_u32 v4, vcc_lo, s8, v4
	s_delay_alu instid0(VALU_DEP_2)
	v_add_co_ci_u32_e32 v5, vcc_lo, s9, v5, vcc_lo
	global_store_b128 v[4:5], v[0:3], off
                                        ; implicit-def: $vgpr4
                                        ; implicit-def: $vgpr0_vgpr1
.LBB131_31:
	s_and_not1_saveexec_b32 s0, s0
	s_cbranch_execz .LBB131_33
; %bb.32:
	v_mov_b32_e32 v5, 0
	s_delay_alu instid0(VALU_DEP_1) | instskip(NEXT) | instid1(VALU_DEP_1)
	v_lshlrev_b64 v[4:5], 4, v[4:5]
	v_add_co_u32 v12, vcc_lo, s8, v4
	s_delay_alu instid0(VALU_DEP_2) | instskip(SKIP_4) | instid1(VALU_DEP_2)
	v_add_co_ci_u32_e32 v13, vcc_lo, s9, v5, vcc_lo
	global_load_b128 v[4:7], v[12:13], off
	s_waitcnt vmcnt(0)
	v_fma_f64 v[0:1], v[8:9], v[4:5], v[0:1]
	v_fma_f64 v[2:3], v[10:11], v[4:5], v[2:3]
	v_fma_f64 v[0:1], -v[10:11], v[6:7], v[0:1]
	s_delay_alu instid0(VALU_DEP_2)
	v_fma_f64 v[2:3], v[8:9], v[6:7], v[2:3]
	global_store_b128 v[12:13], v[0:3], off
.LBB131_33:
	s_nop 0
	s_sendmsg sendmsg(MSG_DEALLOC_VGPRS)
	s_endpgm
	.section	.rodata,"a",@progbits
	.p2align	6, 0x0
	.amdhsa_kernel _ZN9rocsparseL22gebsrmvn_mxn_16_kernelILj64ELj16ELj4E21rocsparse_complex_numIdEEEvi20rocsparse_direction_NS_24const_host_device_scalarIT2_EEPKiS8_PKS5_iiSA_S6_PS5_21rocsparse_index_base_b
		.amdhsa_group_segment_fixed_size 2048
		.amdhsa_private_segment_fixed_size 0
		.amdhsa_kernarg_size 96
		.amdhsa_user_sgpr_count 15
		.amdhsa_user_sgpr_dispatch_ptr 1
		.amdhsa_user_sgpr_queue_ptr 0
		.amdhsa_user_sgpr_kernarg_segment_ptr 1
		.amdhsa_user_sgpr_dispatch_id 0
		.amdhsa_user_sgpr_private_segment_size 0
		.amdhsa_wavefront_size32 1
		.amdhsa_uses_dynamic_stack 0
		.amdhsa_enable_private_segment 0
		.amdhsa_system_sgpr_workgroup_id_x 1
		.amdhsa_system_sgpr_workgroup_id_y 0
		.amdhsa_system_sgpr_workgroup_id_z 0
		.amdhsa_system_sgpr_workgroup_info 0
		.amdhsa_system_vgpr_workitem_id 2
		.amdhsa_next_free_vgpr 26
		.amdhsa_next_free_sgpr 18
		.amdhsa_reserve_vcc 1
		.amdhsa_float_round_mode_32 0
		.amdhsa_float_round_mode_16_64 0
		.amdhsa_float_denorm_mode_32 3
		.amdhsa_float_denorm_mode_16_64 3
		.amdhsa_dx10_clamp 1
		.amdhsa_ieee_mode 1
		.amdhsa_fp16_overflow 0
		.amdhsa_workgroup_processor_mode 1
		.amdhsa_memory_ordered 1
		.amdhsa_forward_progress 0
		.amdhsa_shared_vgpr_count 0
		.amdhsa_exception_fp_ieee_invalid_op 0
		.amdhsa_exception_fp_denorm_src 0
		.amdhsa_exception_fp_ieee_div_zero 0
		.amdhsa_exception_fp_ieee_overflow 0
		.amdhsa_exception_fp_ieee_underflow 0
		.amdhsa_exception_fp_ieee_inexact 0
		.amdhsa_exception_int_div_zero 0
	.end_amdhsa_kernel
	.section	.text._ZN9rocsparseL22gebsrmvn_mxn_16_kernelILj64ELj16ELj4E21rocsparse_complex_numIdEEEvi20rocsparse_direction_NS_24const_host_device_scalarIT2_EEPKiS8_PKS5_iiSA_S6_PS5_21rocsparse_index_base_b,"axG",@progbits,_ZN9rocsparseL22gebsrmvn_mxn_16_kernelILj64ELj16ELj4E21rocsparse_complex_numIdEEEvi20rocsparse_direction_NS_24const_host_device_scalarIT2_EEPKiS8_PKS5_iiSA_S6_PS5_21rocsparse_index_base_b,comdat
.Lfunc_end131:
	.size	_ZN9rocsparseL22gebsrmvn_mxn_16_kernelILj64ELj16ELj4E21rocsparse_complex_numIdEEEvi20rocsparse_direction_NS_24const_host_device_scalarIT2_EEPKiS8_PKS5_iiSA_S6_PS5_21rocsparse_index_base_b, .Lfunc_end131-_ZN9rocsparseL22gebsrmvn_mxn_16_kernelILj64ELj16ELj4E21rocsparse_complex_numIdEEEvi20rocsparse_direction_NS_24const_host_device_scalarIT2_EEPKiS8_PKS5_iiSA_S6_PS5_21rocsparse_index_base_b
                                        ; -- End function
	.section	.AMDGPU.csdata,"",@progbits
; Kernel info:
; codeLenInByte = 1460
; NumSgprs: 20
; NumVgprs: 26
; ScratchSize: 0
; MemoryBound: 0
; FloatMode: 240
; IeeeMode: 1
; LDSByteSize: 2048 bytes/workgroup (compile time only)
; SGPRBlocks: 2
; VGPRBlocks: 3
; NumSGPRsForWavesPerEU: 20
; NumVGPRsForWavesPerEU: 26
; Occupancy: 16
; WaveLimiterHint : 1
; COMPUTE_PGM_RSRC2:SCRATCH_EN: 0
; COMPUTE_PGM_RSRC2:USER_SGPR: 15
; COMPUTE_PGM_RSRC2:TRAP_HANDLER: 0
; COMPUTE_PGM_RSRC2:TGID_X_EN: 1
; COMPUTE_PGM_RSRC2:TGID_Y_EN: 0
; COMPUTE_PGM_RSRC2:TGID_Z_EN: 0
; COMPUTE_PGM_RSRC2:TIDIG_COMP_CNT: 2
	.section	.text._ZN9rocsparseL22gebsrmvn_mxn_16_kernelILj80ELj16ELj5E21rocsparse_complex_numIdEEEvi20rocsparse_direction_NS_24const_host_device_scalarIT2_EEPKiS8_PKS5_iiSA_S6_PS5_21rocsparse_index_base_b,"axG",@progbits,_ZN9rocsparseL22gebsrmvn_mxn_16_kernelILj80ELj16ELj5E21rocsparse_complex_numIdEEEvi20rocsparse_direction_NS_24const_host_device_scalarIT2_EEPKiS8_PKS5_iiSA_S6_PS5_21rocsparse_index_base_b,comdat
	.globl	_ZN9rocsparseL22gebsrmvn_mxn_16_kernelILj80ELj16ELj5E21rocsparse_complex_numIdEEEvi20rocsparse_direction_NS_24const_host_device_scalarIT2_EEPKiS8_PKS5_iiSA_S6_PS5_21rocsparse_index_base_b ; -- Begin function _ZN9rocsparseL22gebsrmvn_mxn_16_kernelILj80ELj16ELj5E21rocsparse_complex_numIdEEEvi20rocsparse_direction_NS_24const_host_device_scalarIT2_EEPKiS8_PKS5_iiSA_S6_PS5_21rocsparse_index_base_b
	.p2align	8
	.type	_ZN9rocsparseL22gebsrmvn_mxn_16_kernelILj80ELj16ELj5E21rocsparse_complex_numIdEEEvi20rocsparse_direction_NS_24const_host_device_scalarIT2_EEPKiS8_PKS5_iiSA_S6_PS5_21rocsparse_index_base_b,@function
_ZN9rocsparseL22gebsrmvn_mxn_16_kernelILj80ELj16ELj5E21rocsparse_complex_numIdEEEvi20rocsparse_direction_NS_24const_host_device_scalarIT2_EEPKiS8_PKS5_iiSA_S6_PS5_21rocsparse_index_base_b: ; @_ZN9rocsparseL22gebsrmvn_mxn_16_kernelILj80ELj16ELj5E21rocsparse_complex_numIdEEEvi20rocsparse_direction_NS_24const_host_device_scalarIT2_EEPKiS8_PKS5_iiSA_S6_PS5_21rocsparse_index_base_b
; %bb.0:
	s_mov_b32 s12, s15
	s_load_b64 s[14:15], s[2:3], 0x58
	s_load_b64 s[16:17], s[0:1], 0x4
	s_load_b128 s[8:11], s[2:3], 0x8
	v_bfe_u32 v1, v0, 10, 10
	s_mov_b64 s[0:1], src_shared_base
	s_load_b128 s[4:7], s[2:3], 0x40
	v_and_b32_e32 v8, 0x3ff, v0
	v_bfe_u32 v0, v0, 20, 10
	s_waitcnt lgkmcnt(0)
	s_bitcmp1_b32 s15, 0
	v_mul_u32_u24_e32 v1, s17, v1
	s_cselect_b32 s0, -1, 0
	v_mov_b32_e32 v16, s11
	s_and_b32 vcc_lo, s0, exec_lo
	s_cselect_b32 s13, s1, s9
	s_lshr_b32 s15, s16, 16
	v_dual_mov_b32 v2, s4 :: v_dual_mov_b32 v15, s10
	s_mul_i32 s15, s15, s17
	s_xor_b32 s10, s0, -1
	v_mad_u32_u24 v1, s15, v8, v1
	v_mov_b32_e32 v5, s13
	v_mov_b32_e32 v3, s5
	s_delay_alu instid0(VALU_DEP_3) | instskip(SKIP_1) | instid1(VALU_DEP_2)
	v_add_lshl_u32 v6, v1, v0, 3
	v_dual_mov_b32 v0, s8 :: v_dual_mov_b32 v1, s9
	v_add_nc_u32_e32 v4, 0x780, v6
	ds_store_2addr_b64 v6, v[2:3], v[0:1] offset0:160 offset1:240
	v_add_nc_u32_e32 v0, 0x500, v6
	v_cndmask_b32_e64 v4, s8, v4, s0
	flat_load_b64 v[13:14], v[4:5]
	s_cbranch_vccnz .LBB132_2
; %bb.1:
	v_dual_mov_b32 v1, s8 :: v_dual_mov_b32 v2, s9
	flat_load_b64 v[15:16], v[1:2] offset:8
.LBB132_2:
	s_and_b32 s8, s0, exec_lo
	s_cselect_b32 s1, s1, s5
	v_cndmask_b32_e64 v0, s4, v0, s0
	v_dual_mov_b32 v1, s1 :: v_dual_mov_b32 v12, s7
	v_mov_b32_e32 v11, s6
	s_and_not1_b32 vcc_lo, exec_lo, s10
	flat_load_b64 v[9:10], v[0:1]
	s_cbranch_vccnz .LBB132_4
; %bb.3:
	v_dual_mov_b32 v0, s4 :: v_dual_mov_b32 v1, s5
	flat_load_b64 v[11:12], v[0:1] offset:8
.LBB132_4:
	s_waitcnt vmcnt(1) lgkmcnt(1)
	v_cmp_eq_f64_e32 vcc_lo, 0, v[13:14]
	v_cmp_eq_f64_e64 s0, 0, v[15:16]
	s_delay_alu instid0(VALU_DEP_1)
	s_and_b32 s4, vcc_lo, s0
	s_mov_b32 s0, -1
	s_and_saveexec_b32 s1, s4
	s_cbranch_execz .LBB132_6
; %bb.5:
	s_waitcnt vmcnt(0) lgkmcnt(0)
	v_cmp_neq_f64_e32 vcc_lo, 1.0, v[9:10]
	v_cmp_neq_f64_e64 s0, 0, v[11:12]
	s_delay_alu instid0(VALU_DEP_1) | instskip(NEXT) | instid1(SALU_CYCLE_1)
	s_or_b32 s0, vcc_lo, s0
	s_or_not1_b32 s0, s0, exec_lo
.LBB132_6:
	s_or_b32 exec_lo, exec_lo, s1
	s_and_saveexec_b32 s1, s0
	s_cbranch_execz .LBB132_37
; %bb.7:
	s_clause 0x1
	s_load_b32 s4, s[2:3], 0x4
	s_load_b64 s[0:1], s[2:3], 0x18
	v_mul_u32_u24_e32 v0, 0x3334, v8
	s_load_b64 s[8:9], s[2:3], 0x50
	v_mov_b32_e32 v2, 0
	v_mov_b32_e32 v3, 0
	s_delay_alu instid0(VALU_DEP_3) | instskip(NEXT) | instid1(VALU_DEP_1)
	v_lshrrev_b32_e32 v0, 16, v0
	v_mul_lo_u16 v0, v0, 5
	s_delay_alu instid0(VALU_DEP_1) | instskip(NEXT) | instid1(VALU_DEP_4)
	v_sub_nc_u16 v7, v8, v0
	v_dual_mov_b32 v0, v2 :: v_dual_mov_b32 v1, v3
	s_waitcnt lgkmcnt(0)
	s_cmp_eq_u32 s4, 1
	s_cselect_b32 vcc_lo, -1, 0
	s_cmp_lg_u32 s4, 1
	s_cselect_b32 s15, -1, 0
	s_ashr_i32 s13, s12, 31
	s_delay_alu instid0(SALU_CYCLE_1) | instskip(NEXT) | instid1(SALU_CYCLE_1)
	s_lshl_b64 s[4:5], s[12:13], 2
	s_add_u32 s0, s0, s4
	s_addc_u32 s1, s1, s5
	s_load_b64 s[10:11], s[0:1], 0x0
	s_waitcnt lgkmcnt(0)
	s_cmp_ge_i32 s10, s11
	s_cbranch_scc1 .LBB132_12
; %bb.8:
	v_lshrrev_b32_e32 v2, 4, v8
	s_clause 0x1
	s_load_b128 s[4:7], s[2:3], 0x20
	s_load_b64 s[0:1], s[2:3], 0x38
	v_and_b32_e32 v4, 0xffff, v8
	v_dual_mov_b32 v5, 0 :: v_dual_and_b32 v6, 0xffff, v7
	v_mul_lo_u16 v0, v2, 52
	s_mul_i32 s2, s14, 0x50
	s_sub_i32 s3, s10, s14
	s_delay_alu instid0(VALU_DEP_1) | instskip(NEXT) | instid1(VALU_DEP_1)
	v_lshrrev_b16 v0, 8, v0
	v_mul_lo_u16 v3, v0, 5
	s_waitcnt vmcnt(0)
	v_mad_u64_u32 v[0:1], null, 0x50, s10, v[8:9]
	s_delay_alu instid0(VALU_DEP_2)
	v_sub_nc_u16 v1, v2, v3
	v_mov_b32_e32 v2, 0
	v_mov_b32_e32 v3, 0
	v_mul_u32_u24_e32 v17, 0x334, v4
	v_subrev_nc_u32_e32 v4, s2, v0
	v_and_b32_e32 v1, 0xff, v1
	s_sub_i32 s2, s11, s14
	s_delay_alu instid0(VALU_DEP_3) | instskip(NEXT) | instid1(VALU_DEP_2)
	v_lshrrev_b32_e32 v19, 16, v17
	v_cndmask_b32_e32 v6, v6, v1, vcc_lo
	v_dual_mov_b32 v0, v2 :: v_dual_mov_b32 v1, v3
	s_set_inst_prefetch_distance 0x1
	s_branch .LBB132_10
	.p2align	6
.LBB132_9:                              ;   in Loop: Header=BB132_10 Depth=1
	s_or_b32 exec_lo, exec_lo, s10
	v_add_nc_u32_e32 v4, 0x50, v4
	s_add_i32 s3, s3, 1
	s_delay_alu instid0(SALU_CYCLE_1)
	s_cmp_ge_i32 s3, s2
	s_cbranch_scc1 .LBB132_12
.LBB132_10:                             ; =>This Inner Loop Header: Depth=1
	v_add_nc_u32_e32 v17, s3, v19
	s_mov_b32 s10, exec_lo
	s_delay_alu instid0(VALU_DEP_1)
	v_cmpx_gt_i32_e64 s2, v17
	s_cbranch_execz .LBB132_9
; %bb.11:                               ;   in Loop: Header=BB132_10 Depth=1
	v_ashrrev_i32_e32 v18, 31, v17
	s_delay_alu instid0(VALU_DEP_1) | instskip(SKIP_1) | instid1(VALU_DEP_1)
	v_lshlrev_b64 v[17:18], 2, v[17:18]
	s_waitcnt lgkmcnt(0)
	v_add_co_u32 v17, vcc_lo, s4, v17
	s_delay_alu instid0(VALU_DEP_2) | instskip(SKIP_3) | instid1(VALU_DEP_1)
	v_add_co_ci_u32_e32 v18, vcc_lo, s5, v18, vcc_lo
	global_load_b32 v17, v[17:18], off
	s_waitcnt vmcnt(0)
	v_subrev_nc_u32_e32 v20, s14, v17
	v_mad_u64_u32 v[17:18], null, v20, 5, v[6:7]
	v_lshlrev_b64 v[20:21], 4, v[4:5]
	s_delay_alu instid0(VALU_DEP_1) | instskip(NEXT) | instid1(VALU_DEP_3)
	v_add_co_u32 v20, vcc_lo, s6, v20
	v_ashrrev_i32_e32 v18, 31, v17
	s_delay_alu instid0(VALU_DEP_3) | instskip(NEXT) | instid1(VALU_DEP_2)
	v_add_co_ci_u32_e32 v21, vcc_lo, s7, v21, vcc_lo
	v_lshlrev_b64 v[17:18], 4, v[17:18]
	s_delay_alu instid0(VALU_DEP_1) | instskip(NEXT) | instid1(VALU_DEP_2)
	v_add_co_u32 v17, vcc_lo, s0, v17
	v_add_co_ci_u32_e32 v18, vcc_lo, s1, v18, vcc_lo
	global_load_b128 v[20:23], v[20:21], off
	global_load_b128 v[24:27], v[17:18], off
	s_waitcnt vmcnt(0)
	v_fma_f64 v[0:1], v[20:21], v[24:25], v[0:1]
	v_fma_f64 v[2:3], v[22:23], v[24:25], v[2:3]
	s_delay_alu instid0(VALU_DEP_2) | instskip(NEXT) | instid1(VALU_DEP_2)
	v_fma_f64 v[0:1], -v[22:23], v[26:27], v[0:1]
	v_fma_f64 v[2:3], v[20:21], v[26:27], v[2:3]
	s_branch .LBB132_9
.LBB132_12:
	s_set_inst_prefetch_distance 0x2
	v_lshlrev_b32_e32 v17, 4, v8
	s_and_b32 vcc_lo, exec_lo, s15
	ds_store_b128 v17, v[0:3]
	s_waitcnt vmcnt(0) lgkmcnt(0)
	s_barrier
	buffer_gl0_inv
	s_cbranch_vccz .LBB132_22
; %bb.13:
	v_cmp_eq_u16_e32 vcc_lo, 0, v7
	s_and_saveexec_b32 s0, vcc_lo
	s_cbranch_execz .LBB132_15
; %bb.14:
	ds_load_b128 v[18:21], v17 offset:64
	ds_load_b128 v[22:25], v17
	s_waitcnt lgkmcnt(0)
	v_add_f64 v[18:19], v[18:19], v[22:23]
	v_add_f64 v[20:21], v[20:21], v[24:25]
	ds_store_b128 v17, v[18:21]
.LBB132_15:
	s_or_b32 exec_lo, exec_lo, s0
	s_delay_alu instid0(SALU_CYCLE_1)
	s_mov_b32 s1, exec_lo
	s_waitcnt lgkmcnt(0)
	s_barrier
	buffer_gl0_inv
	v_cmpx_gt_u16_e32 2, v7
	s_cbranch_execz .LBB132_17
; %bb.16:
	ds_load_b128 v[4:7], v17
	ds_load_b128 v[18:21], v17 offset:32
	s_waitcnt lgkmcnt(0)
	v_add_f64 v[4:5], v[18:19], v[4:5]
	v_add_f64 v[6:7], v[20:21], v[6:7]
	ds_store_b128 v17, v[4:7]
.LBB132_17:
	s_or_b32 exec_lo, exec_lo, s1
	s_waitcnt lgkmcnt(0)
	s_barrier
	buffer_gl0_inv
	s_and_saveexec_b32 s0, vcc_lo
	s_cbranch_execz .LBB132_19
; %bb.18:
	ds_load_b128 v[4:7], v17
	ds_load_b128 v[18:21], v17 offset:16
	s_waitcnt lgkmcnt(0)
	v_add_f64 v[4:5], v[18:19], v[4:5]
	v_add_f64 v[6:7], v[20:21], v[6:7]
	ds_store_b128 v17, v[4:7]
.LBB132_19:
	s_or_b32 exec_lo, exec_lo, s0
	v_dual_mov_b32 v7, v3 :: v_dual_mov_b32 v6, v2
	v_dual_mov_b32 v5, v1 :: v_dual_mov_b32 v4, v0
	s_mov_b32 s0, exec_lo
	s_waitcnt lgkmcnt(0)
	s_barrier
	buffer_gl0_inv
	v_cmpx_gt_u32_e32 16, v8
	s_cbranch_execz .LBB132_21
; %bb.20:
	v_lshl_add_u32 v4, v8, 6, v17
	ds_load_b128 v[4:7], v4
.LBB132_21:
	s_or_b32 exec_lo, exec_lo, s0
	v_cmp_gt_u32_e64 s0, 16, v8
	s_branch .LBB132_32
.LBB132_22:
                                        ; implicit-def: $vgpr6_vgpr7
	v_cmp_gt_u32_e64 s0, 16, v8
	s_cbranch_execz .LBB132_32
; %bb.23:
	v_cmp_lt_u32_e32 vcc_lo, 15, v8
	s_delay_alu instid0(VALU_DEP_2)
	s_and_saveexec_b32 s1, s0
	s_cbranch_execz .LBB132_25
; %bb.24:
	s_waitcnt lgkmcnt(0)
	ds_load_b128 v[4:7], v17 offset:1024
	ds_load_b128 v[18:21], v17
	s_waitcnt lgkmcnt(0)
	v_add_f64 v[4:5], v[4:5], v[18:19]
	v_add_f64 v[6:7], v[6:7], v[20:21]
	ds_store_b128 v17, v[4:7]
.LBB132_25:
	s_or_b32 exec_lo, exec_lo, s1
	s_delay_alu instid0(SALU_CYCLE_1)
	s_mov_b32 s1, exec_lo
	s_waitcnt lgkmcnt(0)
	s_barrier
	buffer_gl0_inv
	v_cmpx_gt_u32_e32 32, v8
	s_cbranch_execz .LBB132_27
; %bb.26:
	ds_load_b128 v[4:7], v17 offset:512
	ds_load_b128 v[18:21], v17
	s_waitcnt lgkmcnt(0)
	v_add_f64 v[4:5], v[4:5], v[18:19]
	v_add_f64 v[6:7], v[6:7], v[20:21]
	ds_store_b128 v17, v[4:7]
.LBB132_27:
	s_or_b32 exec_lo, exec_lo, s1
	s_waitcnt lgkmcnt(0)
	buffer_gl0_inv
	s_and_saveexec_b32 s0, vcc_lo
	s_delay_alu instid0(SALU_CYCLE_1)
	s_xor_b32 s0, exec_lo, s0
	s_cbranch_execz .LBB132_29
; %bb.28:
	buffer_gl0_inv
                                        ; implicit-def: $vgpr17
.LBB132_29:
	s_and_not1_saveexec_b32 s0, s0
	s_cbranch_execz .LBB132_31
; %bb.30:
	ds_load_b128 v[0:3], v17 offset:256
	ds_load_b128 v[4:7], v17
	s_waitcnt lgkmcnt(0)
	v_add_f64 v[0:1], v[0:1], v[4:5]
	v_add_f64 v[2:3], v[2:3], v[6:7]
	ds_store_b128 v17, v[0:3]
	s_waitcnt lgkmcnt(0)
	buffer_gl0_inv
	ds_load_b128 v[0:3], v17
.LBB132_31:
	s_or_b32 exec_lo, exec_lo, s0
	s_waitcnt lgkmcnt(0)
	v_dual_mov_b32 v7, v3 :: v_dual_mov_b32 v6, v2
	v_dual_mov_b32 v5, v1 :: v_dual_mov_b32 v4, v0
.LBB132_32:
	v_cmp_gt_u32_e32 vcc_lo, 16, v8
	s_and_b32 exec_lo, exec_lo, vcc_lo
	s_cbranch_execz .LBB132_37
; %bb.33:
	s_waitcnt lgkmcnt(0)
	v_mul_f64 v[0:1], v[6:7], -v[15:16]
	v_mul_f64 v[2:3], v[13:14], v[6:7]
	v_cmp_eq_f64_e32 vcc_lo, 0, v[9:10]
	v_cmp_eq_f64_e64 s0, 0, v[11:12]
	s_delay_alu instid0(VALU_DEP_4) | instskip(NEXT) | instid1(VALU_DEP_4)
	v_fma_f64 v[0:1], v[13:14], v[4:5], v[0:1]
	v_fma_f64 v[2:3], v[15:16], v[4:5], v[2:3]
	v_lshl_or_b32 v4, s12, 4, v8
	s_delay_alu instid0(VALU_DEP_4) | instskip(NEXT) | instid1(SALU_CYCLE_1)
	s_and_b32 s0, vcc_lo, s0
	s_and_saveexec_b32 s1, s0
	s_delay_alu instid0(SALU_CYCLE_1)
	s_xor_b32 s0, exec_lo, s1
	s_cbranch_execz .LBB132_35
; %bb.34:
	v_mov_b32_e32 v5, 0
                                        ; implicit-def: $vgpr9_vgpr10
                                        ; implicit-def: $vgpr11_vgpr12
	s_delay_alu instid0(VALU_DEP_1) | instskip(NEXT) | instid1(VALU_DEP_1)
	v_lshlrev_b64 v[4:5], 4, v[4:5]
	v_add_co_u32 v4, vcc_lo, s8, v4
	s_delay_alu instid0(VALU_DEP_2)
	v_add_co_ci_u32_e32 v5, vcc_lo, s9, v5, vcc_lo
	global_store_b128 v[4:5], v[0:3], off
                                        ; implicit-def: $vgpr4
                                        ; implicit-def: $vgpr0_vgpr1
.LBB132_35:
	s_and_not1_saveexec_b32 s0, s0
	s_cbranch_execz .LBB132_37
; %bb.36:
	v_mov_b32_e32 v5, 0
	s_delay_alu instid0(VALU_DEP_1) | instskip(NEXT) | instid1(VALU_DEP_1)
	v_lshlrev_b64 v[4:5], 4, v[4:5]
	v_add_co_u32 v13, vcc_lo, s8, v4
	s_delay_alu instid0(VALU_DEP_2) | instskip(SKIP_4) | instid1(VALU_DEP_2)
	v_add_co_ci_u32_e32 v14, vcc_lo, s9, v5, vcc_lo
	global_load_b128 v[4:7], v[13:14], off
	s_waitcnt vmcnt(0)
	v_fma_f64 v[0:1], v[9:10], v[4:5], v[0:1]
	v_fma_f64 v[2:3], v[11:12], v[4:5], v[2:3]
	v_fma_f64 v[0:1], -v[11:12], v[6:7], v[0:1]
	s_delay_alu instid0(VALU_DEP_2)
	v_fma_f64 v[2:3], v[9:10], v[6:7], v[2:3]
	global_store_b128 v[13:14], v[0:3], off
.LBB132_37:
	s_nop 0
	s_sendmsg sendmsg(MSG_DEALLOC_VGPRS)
	s_endpgm
	.section	.rodata,"a",@progbits
	.p2align	6, 0x0
	.amdhsa_kernel _ZN9rocsparseL22gebsrmvn_mxn_16_kernelILj80ELj16ELj5E21rocsparse_complex_numIdEEEvi20rocsparse_direction_NS_24const_host_device_scalarIT2_EEPKiS8_PKS5_iiSA_S6_PS5_21rocsparse_index_base_b
		.amdhsa_group_segment_fixed_size 2560
		.amdhsa_private_segment_fixed_size 0
		.amdhsa_kernarg_size 96
		.amdhsa_user_sgpr_count 15
		.amdhsa_user_sgpr_dispatch_ptr 1
		.amdhsa_user_sgpr_queue_ptr 0
		.amdhsa_user_sgpr_kernarg_segment_ptr 1
		.amdhsa_user_sgpr_dispatch_id 0
		.amdhsa_user_sgpr_private_segment_size 0
		.amdhsa_wavefront_size32 1
		.amdhsa_uses_dynamic_stack 0
		.amdhsa_enable_private_segment 0
		.amdhsa_system_sgpr_workgroup_id_x 1
		.amdhsa_system_sgpr_workgroup_id_y 0
		.amdhsa_system_sgpr_workgroup_id_z 0
		.amdhsa_system_sgpr_workgroup_info 0
		.amdhsa_system_vgpr_workitem_id 2
		.amdhsa_next_free_vgpr 28
		.amdhsa_next_free_sgpr 18
		.amdhsa_reserve_vcc 1
		.amdhsa_float_round_mode_32 0
		.amdhsa_float_round_mode_16_64 0
		.amdhsa_float_denorm_mode_32 3
		.amdhsa_float_denorm_mode_16_64 3
		.amdhsa_dx10_clamp 1
		.amdhsa_ieee_mode 1
		.amdhsa_fp16_overflow 0
		.amdhsa_workgroup_processor_mode 1
		.amdhsa_memory_ordered 1
		.amdhsa_forward_progress 0
		.amdhsa_shared_vgpr_count 0
		.amdhsa_exception_fp_ieee_invalid_op 0
		.amdhsa_exception_fp_denorm_src 0
		.amdhsa_exception_fp_ieee_div_zero 0
		.amdhsa_exception_fp_ieee_overflow 0
		.amdhsa_exception_fp_ieee_underflow 0
		.amdhsa_exception_fp_ieee_inexact 0
		.amdhsa_exception_int_div_zero 0
	.end_amdhsa_kernel
	.section	.text._ZN9rocsparseL22gebsrmvn_mxn_16_kernelILj80ELj16ELj5E21rocsparse_complex_numIdEEEvi20rocsparse_direction_NS_24const_host_device_scalarIT2_EEPKiS8_PKS5_iiSA_S6_PS5_21rocsparse_index_base_b,"axG",@progbits,_ZN9rocsparseL22gebsrmvn_mxn_16_kernelILj80ELj16ELj5E21rocsparse_complex_numIdEEEvi20rocsparse_direction_NS_24const_host_device_scalarIT2_EEPKiS8_PKS5_iiSA_S6_PS5_21rocsparse_index_base_b,comdat
.Lfunc_end132:
	.size	_ZN9rocsparseL22gebsrmvn_mxn_16_kernelILj80ELj16ELj5E21rocsparse_complex_numIdEEEvi20rocsparse_direction_NS_24const_host_device_scalarIT2_EEPKiS8_PKS5_iiSA_S6_PS5_21rocsparse_index_base_b, .Lfunc_end132-_ZN9rocsparseL22gebsrmvn_mxn_16_kernelILj80ELj16ELj5E21rocsparse_complex_numIdEEEvi20rocsparse_direction_NS_24const_host_device_scalarIT2_EEPKiS8_PKS5_iiSA_S6_PS5_21rocsparse_index_base_b
                                        ; -- End function
	.section	.AMDGPU.csdata,"",@progbits
; Kernel info:
; codeLenInByte = 1748
; NumSgprs: 20
; NumVgprs: 28
; ScratchSize: 0
; MemoryBound: 0
; FloatMode: 240
; IeeeMode: 1
; LDSByteSize: 2560 bytes/workgroup (compile time only)
; SGPRBlocks: 2
; VGPRBlocks: 3
; NumSGPRsForWavesPerEU: 20
; NumVGPRsForWavesPerEU: 28
; Occupancy: 16
; WaveLimiterHint : 1
; COMPUTE_PGM_RSRC2:SCRATCH_EN: 0
; COMPUTE_PGM_RSRC2:USER_SGPR: 15
; COMPUTE_PGM_RSRC2:TRAP_HANDLER: 0
; COMPUTE_PGM_RSRC2:TGID_X_EN: 1
; COMPUTE_PGM_RSRC2:TGID_Y_EN: 0
; COMPUTE_PGM_RSRC2:TGID_Z_EN: 0
; COMPUTE_PGM_RSRC2:TIDIG_COMP_CNT: 2
	.section	.text._ZN9rocsparseL22gebsrmvn_mxn_16_kernelILj96ELj16ELj6E21rocsparse_complex_numIdEEEvi20rocsparse_direction_NS_24const_host_device_scalarIT2_EEPKiS8_PKS5_iiSA_S6_PS5_21rocsparse_index_base_b,"axG",@progbits,_ZN9rocsparseL22gebsrmvn_mxn_16_kernelILj96ELj16ELj6E21rocsparse_complex_numIdEEEvi20rocsparse_direction_NS_24const_host_device_scalarIT2_EEPKiS8_PKS5_iiSA_S6_PS5_21rocsparse_index_base_b,comdat
	.globl	_ZN9rocsparseL22gebsrmvn_mxn_16_kernelILj96ELj16ELj6E21rocsparse_complex_numIdEEEvi20rocsparse_direction_NS_24const_host_device_scalarIT2_EEPKiS8_PKS5_iiSA_S6_PS5_21rocsparse_index_base_b ; -- Begin function _ZN9rocsparseL22gebsrmvn_mxn_16_kernelILj96ELj16ELj6E21rocsparse_complex_numIdEEEvi20rocsparse_direction_NS_24const_host_device_scalarIT2_EEPKiS8_PKS5_iiSA_S6_PS5_21rocsparse_index_base_b
	.p2align	8
	.type	_ZN9rocsparseL22gebsrmvn_mxn_16_kernelILj96ELj16ELj6E21rocsparse_complex_numIdEEEvi20rocsparse_direction_NS_24const_host_device_scalarIT2_EEPKiS8_PKS5_iiSA_S6_PS5_21rocsparse_index_base_b,@function
_ZN9rocsparseL22gebsrmvn_mxn_16_kernelILj96ELj16ELj6E21rocsparse_complex_numIdEEEvi20rocsparse_direction_NS_24const_host_device_scalarIT2_EEPKiS8_PKS5_iiSA_S6_PS5_21rocsparse_index_base_b: ; @_ZN9rocsparseL22gebsrmvn_mxn_16_kernelILj96ELj16ELj6E21rocsparse_complex_numIdEEEvi20rocsparse_direction_NS_24const_host_device_scalarIT2_EEPKiS8_PKS5_iiSA_S6_PS5_21rocsparse_index_base_b
; %bb.0:
	s_mov_b32 s12, s15
	s_load_b64 s[14:15], s[2:3], 0x58
	s_load_b64 s[16:17], s[0:1], 0x4
	s_load_b128 s[8:11], s[2:3], 0x8
	v_bfe_u32 v1, v0, 10, 10
	s_mov_b64 s[0:1], src_shared_base
	s_load_b128 s[4:7], s[2:3], 0x40
	v_and_b32_e32 v8, 0x3ff, v0
	v_bfe_u32 v0, v0, 20, 10
	s_waitcnt lgkmcnt(0)
	s_bitcmp1_b32 s15, 0
	v_mul_u32_u24_e32 v1, s17, v1
	s_cselect_b32 s0, -1, 0
	v_mov_b32_e32 v16, s11
	s_and_b32 vcc_lo, s0, exec_lo
	s_cselect_b32 s13, s1, s9
	s_lshr_b32 s15, s16, 16
	v_dual_mov_b32 v2, s4 :: v_dual_mov_b32 v5, s13
	s_mul_i32 s15, s15, s17
	v_mov_b32_e32 v3, s5
	v_mad_u32_u24 v1, s15, v8, v1
	v_mov_b32_e32 v15, s10
	s_xor_b32 s10, s0, -1
	s_delay_alu instid0(VALU_DEP_2) | instskip(SKIP_1) | instid1(VALU_DEP_2)
	v_add_lshl_u32 v6, v1, v0, 3
	v_dual_mov_b32 v0, s8 :: v_dual_mov_b32 v1, s9
	v_add_nc_u32_e32 v7, 0x400, v6
	v_add_nc_u32_e32 v4, 0x900, v6
	ds_store_2addr_b64 v7, v[2:3], v[0:1] offset0:64 offset1:160
	v_cndmask_b32_e64 v4, s8, v4, s0
	v_add_nc_u32_e32 v0, 0x600, v6
	flat_load_b64 v[13:14], v[4:5]
	s_cbranch_vccnz .LBB133_2
; %bb.1:
	v_dual_mov_b32 v1, s8 :: v_dual_mov_b32 v2, s9
	flat_load_b64 v[15:16], v[1:2] offset:8
.LBB133_2:
	s_and_b32 s8, s0, exec_lo
	s_cselect_b32 s1, s1, s5
	v_cndmask_b32_e64 v0, s4, v0, s0
	v_dual_mov_b32 v1, s1 :: v_dual_mov_b32 v12, s7
	v_mov_b32_e32 v11, s6
	s_and_not1_b32 vcc_lo, exec_lo, s10
	flat_load_b64 v[9:10], v[0:1]
	s_cbranch_vccnz .LBB133_4
; %bb.3:
	v_dual_mov_b32 v0, s4 :: v_dual_mov_b32 v1, s5
	flat_load_b64 v[11:12], v[0:1] offset:8
.LBB133_4:
	s_waitcnt vmcnt(1) lgkmcnt(1)
	v_cmp_eq_f64_e32 vcc_lo, 0, v[13:14]
	v_cmp_eq_f64_e64 s0, 0, v[15:16]
	s_delay_alu instid0(VALU_DEP_1)
	s_and_b32 s4, vcc_lo, s0
	s_mov_b32 s0, -1
	s_and_saveexec_b32 s1, s4
	s_cbranch_execz .LBB133_6
; %bb.5:
	s_waitcnt vmcnt(0) lgkmcnt(0)
	v_cmp_neq_f64_e32 vcc_lo, 1.0, v[9:10]
	v_cmp_neq_f64_e64 s0, 0, v[11:12]
	s_delay_alu instid0(VALU_DEP_1) | instskip(NEXT) | instid1(SALU_CYCLE_1)
	s_or_b32 s0, vcc_lo, s0
	s_or_not1_b32 s0, s0, exec_lo
.LBB133_6:
	s_or_b32 exec_lo, exec_lo, s1
	s_and_saveexec_b32 s1, s0
	s_cbranch_execz .LBB133_37
; %bb.7:
	s_clause 0x1
	s_load_b32 s4, s[2:3], 0x4
	s_load_b64 s[0:1], s[2:3], 0x18
	v_mul_u32_u24_e32 v0, 0x2aab, v8
	s_load_b64 s[8:9], s[2:3], 0x50
	v_mov_b32_e32 v2, 0
	v_mov_b32_e32 v3, 0
	s_delay_alu instid0(VALU_DEP_3) | instskip(NEXT) | instid1(VALU_DEP_1)
	v_lshrrev_b32_e32 v0, 16, v0
	v_mul_lo_u16 v0, v0, 6
	s_delay_alu instid0(VALU_DEP_1) | instskip(NEXT) | instid1(VALU_DEP_4)
	v_sub_nc_u16 v7, v8, v0
	v_dual_mov_b32 v0, v2 :: v_dual_mov_b32 v1, v3
	s_waitcnt lgkmcnt(0)
	s_cmp_eq_u32 s4, 1
	s_cselect_b32 vcc_lo, -1, 0
	s_cmp_lg_u32 s4, 1
	s_cselect_b32 s15, -1, 0
	s_ashr_i32 s13, s12, 31
	s_delay_alu instid0(SALU_CYCLE_1) | instskip(NEXT) | instid1(SALU_CYCLE_1)
	s_lshl_b64 s[4:5], s[12:13], 2
	s_add_u32 s0, s0, s4
	s_addc_u32 s1, s1, s5
	s_load_b64 s[10:11], s[0:1], 0x0
	s_waitcnt lgkmcnt(0)
	s_cmp_ge_i32 s10, s11
	s_cbranch_scc1 .LBB133_12
; %bb.8:
	v_lshrrev_b32_e32 v2, 4, v8
	s_clause 0x1
	s_load_b128 s[4:7], s[2:3], 0x20
	s_load_b64 s[0:1], s[2:3], 0x38
	v_and_b32_e32 v4, 0xffff, v8
	v_dual_mov_b32 v5, 0 :: v_dual_and_b32 v6, 0xffff, v7
	v_mul_lo_u16 v0, v2, 43
	s_mul_i32 s2, s14, 0x60
	s_sub_i32 s3, s10, s14
	s_delay_alu instid0(VALU_DEP_1) | instskip(NEXT) | instid1(VALU_DEP_1)
	v_lshrrev_b16 v0, 8, v0
	v_mul_lo_u16 v3, v0, 6
	s_waitcnt vmcnt(0)
	v_mad_u64_u32 v[0:1], null, 0x60, s10, v[8:9]
	s_delay_alu instid0(VALU_DEP_2)
	v_sub_nc_u16 v1, v2, v3
	v_mov_b32_e32 v2, 0
	v_mov_b32_e32 v3, 0
	v_mul_u32_u24_e32 v17, 0x2ab, v4
	v_subrev_nc_u32_e32 v4, s2, v0
	v_and_b32_e32 v1, 0xff, v1
	s_sub_i32 s2, s11, s14
	s_delay_alu instid0(VALU_DEP_3) | instskip(NEXT) | instid1(VALU_DEP_2)
	v_lshrrev_b32_e32 v19, 16, v17
	v_cndmask_b32_e32 v6, v6, v1, vcc_lo
	v_dual_mov_b32 v0, v2 :: v_dual_mov_b32 v1, v3
	s_set_inst_prefetch_distance 0x1
	s_branch .LBB133_10
	.p2align	6
.LBB133_9:                              ;   in Loop: Header=BB133_10 Depth=1
	s_or_b32 exec_lo, exec_lo, s10
	v_add_nc_u32_e32 v4, 0x60, v4
	s_add_i32 s3, s3, 1
	s_delay_alu instid0(SALU_CYCLE_1)
	s_cmp_ge_i32 s3, s2
	s_cbranch_scc1 .LBB133_12
.LBB133_10:                             ; =>This Inner Loop Header: Depth=1
	v_add_nc_u32_e32 v17, s3, v19
	s_mov_b32 s10, exec_lo
	s_delay_alu instid0(VALU_DEP_1)
	v_cmpx_gt_i32_e64 s2, v17
	s_cbranch_execz .LBB133_9
; %bb.11:                               ;   in Loop: Header=BB133_10 Depth=1
	v_ashrrev_i32_e32 v18, 31, v17
	s_delay_alu instid0(VALU_DEP_1) | instskip(SKIP_1) | instid1(VALU_DEP_1)
	v_lshlrev_b64 v[17:18], 2, v[17:18]
	s_waitcnt lgkmcnt(0)
	v_add_co_u32 v17, vcc_lo, s4, v17
	s_delay_alu instid0(VALU_DEP_2) | instskip(SKIP_3) | instid1(VALU_DEP_1)
	v_add_co_ci_u32_e32 v18, vcc_lo, s5, v18, vcc_lo
	global_load_b32 v17, v[17:18], off
	s_waitcnt vmcnt(0)
	v_subrev_nc_u32_e32 v20, s14, v17
	v_mad_u64_u32 v[17:18], null, v20, 6, v[6:7]
	v_lshlrev_b64 v[20:21], 4, v[4:5]
	s_delay_alu instid0(VALU_DEP_1) | instskip(NEXT) | instid1(VALU_DEP_3)
	v_add_co_u32 v20, vcc_lo, s6, v20
	v_ashrrev_i32_e32 v18, 31, v17
	s_delay_alu instid0(VALU_DEP_3) | instskip(NEXT) | instid1(VALU_DEP_2)
	v_add_co_ci_u32_e32 v21, vcc_lo, s7, v21, vcc_lo
	v_lshlrev_b64 v[17:18], 4, v[17:18]
	s_delay_alu instid0(VALU_DEP_1) | instskip(NEXT) | instid1(VALU_DEP_2)
	v_add_co_u32 v17, vcc_lo, s0, v17
	v_add_co_ci_u32_e32 v18, vcc_lo, s1, v18, vcc_lo
	global_load_b128 v[20:23], v[20:21], off
	global_load_b128 v[24:27], v[17:18], off
	s_waitcnt vmcnt(0)
	v_fma_f64 v[0:1], v[20:21], v[24:25], v[0:1]
	v_fma_f64 v[2:3], v[22:23], v[24:25], v[2:3]
	s_delay_alu instid0(VALU_DEP_2) | instskip(NEXT) | instid1(VALU_DEP_2)
	v_fma_f64 v[0:1], -v[22:23], v[26:27], v[0:1]
	v_fma_f64 v[2:3], v[20:21], v[26:27], v[2:3]
	s_branch .LBB133_9
.LBB133_12:
	s_set_inst_prefetch_distance 0x2
	v_lshlrev_b32_e32 v17, 4, v8
	s_and_b32 vcc_lo, exec_lo, s15
	ds_store_b128 v17, v[0:3]
	s_waitcnt vmcnt(0) lgkmcnt(0)
	s_barrier
	buffer_gl0_inv
	s_cbranch_vccz .LBB133_22
; %bb.13:
	v_cmp_gt_u16_e32 vcc_lo, 2, v7
	s_and_saveexec_b32 s0, vcc_lo
	s_cbranch_execz .LBB133_15
; %bb.14:
	ds_load_b128 v[18:21], v17 offset:64
	ds_load_b128 v[22:25], v17
	s_waitcnt lgkmcnt(0)
	v_add_f64 v[18:19], v[18:19], v[22:23]
	v_add_f64 v[20:21], v[20:21], v[24:25]
	ds_store_b128 v17, v[18:21]
.LBB133_15:
	s_or_b32 exec_lo, exec_lo, s0
	s_waitcnt lgkmcnt(0)
	s_barrier
	buffer_gl0_inv
	s_and_saveexec_b32 s0, vcc_lo
	s_cbranch_execz .LBB133_17
; %bb.16:
	ds_load_b128 v[18:21], v17
	ds_load_b128 v[22:25], v17 offset:32
	s_waitcnt lgkmcnt(0)
	v_add_f64 v[18:19], v[22:23], v[18:19]
	v_add_f64 v[20:21], v[24:25], v[20:21]
	ds_store_b128 v17, v[18:21]
.LBB133_17:
	s_or_b32 exec_lo, exec_lo, s0
	s_delay_alu instid0(SALU_CYCLE_1)
	s_mov_b32 s0, exec_lo
	s_waitcnt lgkmcnt(0)
	s_barrier
	buffer_gl0_inv
	v_cmpx_eq_u16_e32 0, v7
	s_cbranch_execz .LBB133_19
; %bb.18:
	ds_load_b128 v[4:7], v17
	ds_load_b128 v[18:21], v17 offset:16
	s_waitcnt lgkmcnt(0)
	v_add_f64 v[4:5], v[18:19], v[4:5]
	v_add_f64 v[6:7], v[20:21], v[6:7]
	ds_store_b128 v17, v[4:7]
.LBB133_19:
	s_or_b32 exec_lo, exec_lo, s0
	v_dual_mov_b32 v7, v3 :: v_dual_mov_b32 v6, v2
	v_dual_mov_b32 v5, v1 :: v_dual_mov_b32 v4, v0
	s_mov_b32 s0, exec_lo
	s_waitcnt lgkmcnt(0)
	s_barrier
	buffer_gl0_inv
	v_cmpx_gt_u32_e32 16, v8
	s_cbranch_execz .LBB133_21
; %bb.20:
	v_mad_u32_u24 v4, 0x50, v8, v17
	ds_load_b128 v[4:7], v4
.LBB133_21:
	s_or_b32 exec_lo, exec_lo, s0
	s_branch .LBB133_32
.LBB133_22:
                                        ; implicit-def: $vgpr6_vgpr7
	s_cbranch_execz .LBB133_32
; %bb.23:
	v_cmp_gt_u32_e32 vcc_lo, 32, v8
	s_and_saveexec_b32 s0, vcc_lo
	s_cbranch_execz .LBB133_25
; %bb.24:
	s_waitcnt lgkmcnt(0)
	ds_load_b128 v[4:7], v17 offset:1024
	ds_load_b128 v[18:21], v17
	s_waitcnt lgkmcnt(0)
	v_add_f64 v[4:5], v[4:5], v[18:19]
	v_add_f64 v[6:7], v[6:7], v[20:21]
	ds_store_b128 v17, v[4:7]
.LBB133_25:
	s_or_b32 exec_lo, exec_lo, s0
	s_waitcnt lgkmcnt(0)
	s_barrier
	buffer_gl0_inv
	s_and_saveexec_b32 s0, vcc_lo
	s_cbranch_execz .LBB133_27
; %bb.26:
	ds_load_b128 v[4:7], v17 offset:512
	ds_load_b128 v[18:21], v17
	s_waitcnt lgkmcnt(0)
	v_add_f64 v[4:5], v[4:5], v[18:19]
	v_add_f64 v[6:7], v[6:7], v[20:21]
	ds_store_b128 v17, v[4:7]
.LBB133_27:
	s_or_b32 exec_lo, exec_lo, s0
	s_delay_alu instid0(SALU_CYCLE_1)
	s_mov_b32 s0, exec_lo
	s_waitcnt lgkmcnt(0)
	buffer_gl0_inv
	v_cmpx_lt_u32_e32 15, v8
	s_xor_b32 s0, exec_lo, s0
	s_cbranch_execz .LBB133_29
; %bb.28:
	buffer_gl0_inv
                                        ; implicit-def: $vgpr17
.LBB133_29:
	s_and_not1_saveexec_b32 s0, s0
	s_cbranch_execz .LBB133_31
; %bb.30:
	ds_load_b128 v[0:3], v17 offset:256
	ds_load_b128 v[4:7], v17
	s_waitcnt lgkmcnt(0)
	v_add_f64 v[0:1], v[0:1], v[4:5]
	v_add_f64 v[2:3], v[2:3], v[6:7]
	ds_store_b128 v17, v[0:3]
	s_waitcnt lgkmcnt(0)
	buffer_gl0_inv
	ds_load_b128 v[0:3], v17
.LBB133_31:
	s_or_b32 exec_lo, exec_lo, s0
	s_waitcnt lgkmcnt(0)
	v_dual_mov_b32 v7, v3 :: v_dual_mov_b32 v6, v2
	v_dual_mov_b32 v5, v1 :: v_dual_mov_b32 v4, v0
.LBB133_32:
	v_cmp_gt_u32_e32 vcc_lo, 16, v8
	s_and_b32 exec_lo, exec_lo, vcc_lo
	s_cbranch_execz .LBB133_37
; %bb.33:
	s_waitcnt lgkmcnt(0)
	v_mul_f64 v[0:1], v[6:7], -v[15:16]
	v_mul_f64 v[2:3], v[13:14], v[6:7]
	v_cmp_eq_f64_e32 vcc_lo, 0, v[9:10]
	v_cmp_eq_f64_e64 s0, 0, v[11:12]
	s_delay_alu instid0(VALU_DEP_4) | instskip(NEXT) | instid1(VALU_DEP_4)
	v_fma_f64 v[0:1], v[13:14], v[4:5], v[0:1]
	v_fma_f64 v[2:3], v[15:16], v[4:5], v[2:3]
	v_lshl_or_b32 v4, s12, 4, v8
	s_delay_alu instid0(VALU_DEP_4) | instskip(NEXT) | instid1(SALU_CYCLE_1)
	s_and_b32 s0, vcc_lo, s0
	s_and_saveexec_b32 s1, s0
	s_delay_alu instid0(SALU_CYCLE_1)
	s_xor_b32 s0, exec_lo, s1
	s_cbranch_execz .LBB133_35
; %bb.34:
	v_mov_b32_e32 v5, 0
                                        ; implicit-def: $vgpr9_vgpr10
                                        ; implicit-def: $vgpr11_vgpr12
	s_delay_alu instid0(VALU_DEP_1) | instskip(NEXT) | instid1(VALU_DEP_1)
	v_lshlrev_b64 v[4:5], 4, v[4:5]
	v_add_co_u32 v4, vcc_lo, s8, v4
	s_delay_alu instid0(VALU_DEP_2)
	v_add_co_ci_u32_e32 v5, vcc_lo, s9, v5, vcc_lo
	global_store_b128 v[4:5], v[0:3], off
                                        ; implicit-def: $vgpr4
                                        ; implicit-def: $vgpr0_vgpr1
.LBB133_35:
	s_and_not1_saveexec_b32 s0, s0
	s_cbranch_execz .LBB133_37
; %bb.36:
	v_mov_b32_e32 v5, 0
	s_delay_alu instid0(VALU_DEP_1) | instskip(NEXT) | instid1(VALU_DEP_1)
	v_lshlrev_b64 v[4:5], 4, v[4:5]
	v_add_co_u32 v13, vcc_lo, s8, v4
	s_delay_alu instid0(VALU_DEP_2) | instskip(SKIP_4) | instid1(VALU_DEP_2)
	v_add_co_ci_u32_e32 v14, vcc_lo, s9, v5, vcc_lo
	global_load_b128 v[4:7], v[13:14], off
	s_waitcnt vmcnt(0)
	v_fma_f64 v[0:1], v[9:10], v[4:5], v[0:1]
	v_fma_f64 v[2:3], v[11:12], v[4:5], v[2:3]
	v_fma_f64 v[0:1], -v[11:12], v[6:7], v[0:1]
	s_delay_alu instid0(VALU_DEP_2)
	v_fma_f64 v[2:3], v[9:10], v[6:7], v[2:3]
	global_store_b128 v[13:14], v[0:3], off
.LBB133_37:
	s_nop 0
	s_sendmsg sendmsg(MSG_DEALLOC_VGPRS)
	s_endpgm
	.section	.rodata,"a",@progbits
	.p2align	6, 0x0
	.amdhsa_kernel _ZN9rocsparseL22gebsrmvn_mxn_16_kernelILj96ELj16ELj6E21rocsparse_complex_numIdEEEvi20rocsparse_direction_NS_24const_host_device_scalarIT2_EEPKiS8_PKS5_iiSA_S6_PS5_21rocsparse_index_base_b
		.amdhsa_group_segment_fixed_size 3072
		.amdhsa_private_segment_fixed_size 0
		.amdhsa_kernarg_size 96
		.amdhsa_user_sgpr_count 15
		.amdhsa_user_sgpr_dispatch_ptr 1
		.amdhsa_user_sgpr_queue_ptr 0
		.amdhsa_user_sgpr_kernarg_segment_ptr 1
		.amdhsa_user_sgpr_dispatch_id 0
		.amdhsa_user_sgpr_private_segment_size 0
		.amdhsa_wavefront_size32 1
		.amdhsa_uses_dynamic_stack 0
		.amdhsa_enable_private_segment 0
		.amdhsa_system_sgpr_workgroup_id_x 1
		.amdhsa_system_sgpr_workgroup_id_y 0
		.amdhsa_system_sgpr_workgroup_id_z 0
		.amdhsa_system_sgpr_workgroup_info 0
		.amdhsa_system_vgpr_workitem_id 2
		.amdhsa_next_free_vgpr 28
		.amdhsa_next_free_sgpr 18
		.amdhsa_reserve_vcc 1
		.amdhsa_float_round_mode_32 0
		.amdhsa_float_round_mode_16_64 0
		.amdhsa_float_denorm_mode_32 3
		.amdhsa_float_denorm_mode_16_64 3
		.amdhsa_dx10_clamp 1
		.amdhsa_ieee_mode 1
		.amdhsa_fp16_overflow 0
		.amdhsa_workgroup_processor_mode 1
		.amdhsa_memory_ordered 1
		.amdhsa_forward_progress 0
		.amdhsa_shared_vgpr_count 0
		.amdhsa_exception_fp_ieee_invalid_op 0
		.amdhsa_exception_fp_denorm_src 0
		.amdhsa_exception_fp_ieee_div_zero 0
		.amdhsa_exception_fp_ieee_overflow 0
		.amdhsa_exception_fp_ieee_underflow 0
		.amdhsa_exception_fp_ieee_inexact 0
		.amdhsa_exception_int_div_zero 0
	.end_amdhsa_kernel
	.section	.text._ZN9rocsparseL22gebsrmvn_mxn_16_kernelILj96ELj16ELj6E21rocsparse_complex_numIdEEEvi20rocsparse_direction_NS_24const_host_device_scalarIT2_EEPKiS8_PKS5_iiSA_S6_PS5_21rocsparse_index_base_b,"axG",@progbits,_ZN9rocsparseL22gebsrmvn_mxn_16_kernelILj96ELj16ELj6E21rocsparse_complex_numIdEEEvi20rocsparse_direction_NS_24const_host_device_scalarIT2_EEPKiS8_PKS5_iiSA_S6_PS5_21rocsparse_index_base_b,comdat
.Lfunc_end133:
	.size	_ZN9rocsparseL22gebsrmvn_mxn_16_kernelILj96ELj16ELj6E21rocsparse_complex_numIdEEEvi20rocsparse_direction_NS_24const_host_device_scalarIT2_EEPKiS8_PKS5_iiSA_S6_PS5_21rocsparse_index_base_b, .Lfunc_end133-_ZN9rocsparseL22gebsrmvn_mxn_16_kernelILj96ELj16ELj6E21rocsparse_complex_numIdEEEvi20rocsparse_direction_NS_24const_host_device_scalarIT2_EEPKiS8_PKS5_iiSA_S6_PS5_21rocsparse_index_base_b
                                        ; -- End function
	.section	.AMDGPU.csdata,"",@progbits
; Kernel info:
; codeLenInByte = 1736
; NumSgprs: 20
; NumVgprs: 28
; ScratchSize: 0
; MemoryBound: 0
; FloatMode: 240
; IeeeMode: 1
; LDSByteSize: 3072 bytes/workgroup (compile time only)
; SGPRBlocks: 2
; VGPRBlocks: 3
; NumSGPRsForWavesPerEU: 20
; NumVGPRsForWavesPerEU: 28
; Occupancy: 16
; WaveLimiterHint : 1
; COMPUTE_PGM_RSRC2:SCRATCH_EN: 0
; COMPUTE_PGM_RSRC2:USER_SGPR: 15
; COMPUTE_PGM_RSRC2:TRAP_HANDLER: 0
; COMPUTE_PGM_RSRC2:TGID_X_EN: 1
; COMPUTE_PGM_RSRC2:TGID_Y_EN: 0
; COMPUTE_PGM_RSRC2:TGID_Z_EN: 0
; COMPUTE_PGM_RSRC2:TIDIG_COMP_CNT: 2
	.section	.text._ZN9rocsparseL22gebsrmvn_mxn_16_kernelILj112ELj16ELj7E21rocsparse_complex_numIdEEEvi20rocsparse_direction_NS_24const_host_device_scalarIT2_EEPKiS8_PKS5_iiSA_S6_PS5_21rocsparse_index_base_b,"axG",@progbits,_ZN9rocsparseL22gebsrmvn_mxn_16_kernelILj112ELj16ELj7E21rocsparse_complex_numIdEEEvi20rocsparse_direction_NS_24const_host_device_scalarIT2_EEPKiS8_PKS5_iiSA_S6_PS5_21rocsparse_index_base_b,comdat
	.globl	_ZN9rocsparseL22gebsrmvn_mxn_16_kernelILj112ELj16ELj7E21rocsparse_complex_numIdEEEvi20rocsparse_direction_NS_24const_host_device_scalarIT2_EEPKiS8_PKS5_iiSA_S6_PS5_21rocsparse_index_base_b ; -- Begin function _ZN9rocsparseL22gebsrmvn_mxn_16_kernelILj112ELj16ELj7E21rocsparse_complex_numIdEEEvi20rocsparse_direction_NS_24const_host_device_scalarIT2_EEPKiS8_PKS5_iiSA_S6_PS5_21rocsparse_index_base_b
	.p2align	8
	.type	_ZN9rocsparseL22gebsrmvn_mxn_16_kernelILj112ELj16ELj7E21rocsparse_complex_numIdEEEvi20rocsparse_direction_NS_24const_host_device_scalarIT2_EEPKiS8_PKS5_iiSA_S6_PS5_21rocsparse_index_base_b,@function
_ZN9rocsparseL22gebsrmvn_mxn_16_kernelILj112ELj16ELj7E21rocsparse_complex_numIdEEEvi20rocsparse_direction_NS_24const_host_device_scalarIT2_EEPKiS8_PKS5_iiSA_S6_PS5_21rocsparse_index_base_b: ; @_ZN9rocsparseL22gebsrmvn_mxn_16_kernelILj112ELj16ELj7E21rocsparse_complex_numIdEEEvi20rocsparse_direction_NS_24const_host_device_scalarIT2_EEPKiS8_PKS5_iiSA_S6_PS5_21rocsparse_index_base_b
; %bb.0:
	s_mov_b32 s12, s15
	s_load_b64 s[14:15], s[2:3], 0x58
	s_load_b64 s[16:17], s[0:1], 0x4
	s_load_b128 s[8:11], s[2:3], 0x8
	v_bfe_u32 v1, v0, 10, 10
	s_mov_b64 s[0:1], src_shared_base
	s_load_b128 s[4:7], s[2:3], 0x40
	v_and_b32_e32 v8, 0x3ff, v0
	v_bfe_u32 v0, v0, 20, 10
	s_waitcnt lgkmcnt(0)
	s_bitcmp1_b32 s15, 0
	v_mul_u32_u24_e32 v1, s17, v1
	s_cselect_b32 s0, -1, 0
	v_mov_b32_e32 v16, s11
	s_and_b32 vcc_lo, s0, exec_lo
	s_cselect_b32 s13, s1, s9
	s_lshr_b32 s15, s16, 16
	v_dual_mov_b32 v2, s4 :: v_dual_mov_b32 v5, s13
	s_mul_i32 s15, s15, s17
	v_mov_b32_e32 v3, s5
	v_mad_u32_u24 v1, s15, v8, v1
	v_mov_b32_e32 v15, s10
	s_xor_b32 s10, s0, -1
	s_delay_alu instid0(VALU_DEP_2) | instskip(SKIP_1) | instid1(VALU_DEP_2)
	v_add_lshl_u32 v6, v1, v0, 3
	v_dual_mov_b32 v0, s8 :: v_dual_mov_b32 v1, s9
	v_add_nc_u32_e32 v7, 0x400, v6
	v_add_nc_u32_e32 v4, 0xa80, v6
	ds_store_2addr_b64 v7, v[2:3], v[0:1] offset0:96 offset1:208
	v_cndmask_b32_e64 v4, s8, v4, s0
	v_add_nc_u32_e32 v0, 0x700, v6
	flat_load_b64 v[13:14], v[4:5]
	s_cbranch_vccnz .LBB134_2
; %bb.1:
	v_dual_mov_b32 v1, s8 :: v_dual_mov_b32 v2, s9
	flat_load_b64 v[15:16], v[1:2] offset:8
.LBB134_2:
	s_and_b32 s8, s0, exec_lo
	s_cselect_b32 s1, s1, s5
	v_cndmask_b32_e64 v0, s4, v0, s0
	v_dual_mov_b32 v1, s1 :: v_dual_mov_b32 v12, s7
	v_mov_b32_e32 v11, s6
	s_and_not1_b32 vcc_lo, exec_lo, s10
	flat_load_b64 v[9:10], v[0:1]
	s_cbranch_vccnz .LBB134_4
; %bb.3:
	v_dual_mov_b32 v0, s4 :: v_dual_mov_b32 v1, s5
	flat_load_b64 v[11:12], v[0:1] offset:8
.LBB134_4:
	s_waitcnt vmcnt(1) lgkmcnt(1)
	v_cmp_eq_f64_e32 vcc_lo, 0, v[13:14]
	v_cmp_eq_f64_e64 s0, 0, v[15:16]
	s_delay_alu instid0(VALU_DEP_1)
	s_and_b32 s4, vcc_lo, s0
	s_mov_b32 s0, -1
	s_and_saveexec_b32 s1, s4
	s_cbranch_execz .LBB134_6
; %bb.5:
	s_waitcnt vmcnt(0) lgkmcnt(0)
	v_cmp_neq_f64_e32 vcc_lo, 1.0, v[9:10]
	v_cmp_neq_f64_e64 s0, 0, v[11:12]
	s_delay_alu instid0(VALU_DEP_1) | instskip(NEXT) | instid1(SALU_CYCLE_1)
	s_or_b32 s0, vcc_lo, s0
	s_or_not1_b32 s0, s0, exec_lo
.LBB134_6:
	s_or_b32 exec_lo, exec_lo, s1
	s_and_saveexec_b32 s1, s0
	s_cbranch_execz .LBB134_37
; %bb.7:
	s_clause 0x1
	s_load_b32 s4, s[2:3], 0x4
	s_load_b64 s[0:1], s[2:3], 0x18
	v_mul_u32_u24_e32 v0, 0x2493, v8
	s_load_b64 s[8:9], s[2:3], 0x50
	v_mov_b32_e32 v2, 0
	v_mov_b32_e32 v3, 0
	s_delay_alu instid0(VALU_DEP_3) | instskip(NEXT) | instid1(VALU_DEP_1)
	v_lshrrev_b32_e32 v0, 16, v0
	v_mul_lo_u16 v0, v0, 7
	s_delay_alu instid0(VALU_DEP_1) | instskip(NEXT) | instid1(VALU_DEP_4)
	v_sub_nc_u16 v7, v8, v0
	v_dual_mov_b32 v0, v2 :: v_dual_mov_b32 v1, v3
	s_waitcnt lgkmcnt(0)
	s_cmp_eq_u32 s4, 1
	s_cselect_b32 vcc_lo, -1, 0
	s_cmp_lg_u32 s4, 1
	s_cselect_b32 s15, -1, 0
	s_ashr_i32 s13, s12, 31
	s_delay_alu instid0(SALU_CYCLE_1) | instskip(NEXT) | instid1(SALU_CYCLE_1)
	s_lshl_b64 s[4:5], s[12:13], 2
	s_add_u32 s0, s0, s4
	s_addc_u32 s1, s1, s5
	s_load_b64 s[10:11], s[0:1], 0x0
	s_waitcnt lgkmcnt(0)
	s_cmp_ge_i32 s10, s11
	s_cbranch_scc1 .LBB134_12
; %bb.8:
	v_lshrrev_b32_e32 v2, 4, v8
	s_clause 0x1
	s_load_b128 s[4:7], s[2:3], 0x20
	s_load_b64 s[0:1], s[2:3], 0x38
	v_and_b32_e32 v4, 0xffff, v8
	v_dual_mov_b32 v5, 0 :: v_dual_and_b32 v6, 0xffff, v7
	v_mul_lo_u16 v0, v2, 37
	s_mul_i32 s2, s14, 0x70
	s_sub_i32 s3, s10, s14
	s_delay_alu instid0(VALU_DEP_1) | instskip(NEXT) | instid1(VALU_DEP_1)
	v_lshrrev_b16 v0, 8, v0
	v_mul_lo_u16 v3, v0, 7
	s_waitcnt vmcnt(0)
	v_mad_u64_u32 v[0:1], null, 0x70, s10, v[8:9]
	s_delay_alu instid0(VALU_DEP_2)
	v_sub_nc_u16 v1, v2, v3
	v_mov_b32_e32 v2, 0
	v_mov_b32_e32 v3, 0
	v_mul_u32_u24_e32 v17, 0x24a, v4
	v_subrev_nc_u32_e32 v4, s2, v0
	v_and_b32_e32 v1, 0xff, v1
	s_sub_i32 s2, s11, s14
	s_delay_alu instid0(VALU_DEP_3) | instskip(NEXT) | instid1(VALU_DEP_2)
	v_lshrrev_b32_e32 v19, 16, v17
	v_cndmask_b32_e32 v6, v6, v1, vcc_lo
	v_dual_mov_b32 v0, v2 :: v_dual_mov_b32 v1, v3
	s_set_inst_prefetch_distance 0x1
	s_branch .LBB134_10
	.p2align	6
.LBB134_9:                              ;   in Loop: Header=BB134_10 Depth=1
	s_or_b32 exec_lo, exec_lo, s10
	v_add_nc_u32_e32 v4, 0x70, v4
	s_add_i32 s3, s3, 1
	s_delay_alu instid0(SALU_CYCLE_1)
	s_cmp_ge_i32 s3, s2
	s_cbranch_scc1 .LBB134_12
.LBB134_10:                             ; =>This Inner Loop Header: Depth=1
	v_add_nc_u32_e32 v17, s3, v19
	s_mov_b32 s10, exec_lo
	s_delay_alu instid0(VALU_DEP_1)
	v_cmpx_gt_i32_e64 s2, v17
	s_cbranch_execz .LBB134_9
; %bb.11:                               ;   in Loop: Header=BB134_10 Depth=1
	v_ashrrev_i32_e32 v18, 31, v17
	s_delay_alu instid0(VALU_DEP_1) | instskip(SKIP_1) | instid1(VALU_DEP_1)
	v_lshlrev_b64 v[17:18], 2, v[17:18]
	s_waitcnt lgkmcnt(0)
	v_add_co_u32 v17, vcc_lo, s4, v17
	s_delay_alu instid0(VALU_DEP_2) | instskip(SKIP_3) | instid1(VALU_DEP_1)
	v_add_co_ci_u32_e32 v18, vcc_lo, s5, v18, vcc_lo
	global_load_b32 v17, v[17:18], off
	s_waitcnt vmcnt(0)
	v_subrev_nc_u32_e32 v20, s14, v17
	v_mad_u64_u32 v[17:18], null, v20, 7, v[6:7]
	v_lshlrev_b64 v[20:21], 4, v[4:5]
	s_delay_alu instid0(VALU_DEP_1) | instskip(NEXT) | instid1(VALU_DEP_3)
	v_add_co_u32 v20, vcc_lo, s6, v20
	v_ashrrev_i32_e32 v18, 31, v17
	s_delay_alu instid0(VALU_DEP_3) | instskip(NEXT) | instid1(VALU_DEP_2)
	v_add_co_ci_u32_e32 v21, vcc_lo, s7, v21, vcc_lo
	v_lshlrev_b64 v[17:18], 4, v[17:18]
	s_delay_alu instid0(VALU_DEP_1) | instskip(NEXT) | instid1(VALU_DEP_2)
	v_add_co_u32 v17, vcc_lo, s0, v17
	v_add_co_ci_u32_e32 v18, vcc_lo, s1, v18, vcc_lo
	global_load_b128 v[20:23], v[20:21], off
	global_load_b128 v[24:27], v[17:18], off
	s_waitcnt vmcnt(0)
	v_fma_f64 v[0:1], v[20:21], v[24:25], v[0:1]
	v_fma_f64 v[2:3], v[22:23], v[24:25], v[2:3]
	s_delay_alu instid0(VALU_DEP_2) | instskip(NEXT) | instid1(VALU_DEP_2)
	v_fma_f64 v[0:1], -v[22:23], v[26:27], v[0:1]
	v_fma_f64 v[2:3], v[20:21], v[26:27], v[2:3]
	s_branch .LBB134_9
.LBB134_12:
	s_set_inst_prefetch_distance 0x2
	v_lshlrev_b32_e32 v17, 4, v8
	s_and_b32 vcc_lo, exec_lo, s15
	ds_store_b128 v17, v[0:3]
	s_waitcnt vmcnt(0) lgkmcnt(0)
	s_barrier
	buffer_gl0_inv
	s_cbranch_vccz .LBB134_22
; %bb.13:
	s_mov_b32 s0, exec_lo
	v_cmpx_gt_u16_e32 3, v7
	s_cbranch_execz .LBB134_15
; %bb.14:
	ds_load_b128 v[18:21], v17 offset:64
	ds_load_b128 v[22:25], v17
	s_waitcnt lgkmcnt(0)
	v_add_f64 v[18:19], v[18:19], v[22:23]
	v_add_f64 v[20:21], v[20:21], v[24:25]
	ds_store_b128 v17, v[18:21]
.LBB134_15:
	s_or_b32 exec_lo, exec_lo, s0
	s_delay_alu instid0(SALU_CYCLE_1)
	s_mov_b32 s0, exec_lo
	s_waitcnt lgkmcnt(0)
	s_barrier
	buffer_gl0_inv
	v_cmpx_gt_u16_e32 2, v7
	s_cbranch_execz .LBB134_17
; %bb.16:
	ds_load_b128 v[18:21], v17
	ds_load_b128 v[22:25], v17 offset:32
	s_waitcnt lgkmcnt(0)
	v_add_f64 v[18:19], v[22:23], v[18:19]
	v_add_f64 v[20:21], v[24:25], v[20:21]
	ds_store_b128 v17, v[18:21]
.LBB134_17:
	s_or_b32 exec_lo, exec_lo, s0
	s_delay_alu instid0(SALU_CYCLE_1)
	s_mov_b32 s0, exec_lo
	s_waitcnt lgkmcnt(0)
	s_barrier
	buffer_gl0_inv
	v_cmpx_eq_u16_e32 0, v7
	s_cbranch_execz .LBB134_19
; %bb.18:
	ds_load_b128 v[4:7], v17
	ds_load_b128 v[18:21], v17 offset:16
	s_waitcnt lgkmcnt(0)
	v_add_f64 v[4:5], v[18:19], v[4:5]
	v_add_f64 v[6:7], v[20:21], v[6:7]
	ds_store_b128 v17, v[4:7]
.LBB134_19:
	s_or_b32 exec_lo, exec_lo, s0
	v_dual_mov_b32 v7, v3 :: v_dual_mov_b32 v6, v2
	v_dual_mov_b32 v5, v1 :: v_dual_mov_b32 v4, v0
	s_mov_b32 s0, exec_lo
	s_waitcnt lgkmcnt(0)
	s_barrier
	buffer_gl0_inv
	v_cmpx_gt_u32_e32 16, v8
	s_cbranch_execz .LBB134_21
; %bb.20:
	v_mad_u32_u24 v4, 0x60, v8, v17
	ds_load_b128 v[4:7], v4
.LBB134_21:
	s_or_b32 exec_lo, exec_lo, s0
	s_branch .LBB134_32
.LBB134_22:
                                        ; implicit-def: $vgpr6_vgpr7
	s_cbranch_execz .LBB134_32
; %bb.23:
	s_mov_b32 s0, exec_lo
	v_cmpx_gt_u32_e32 48, v8
	s_cbranch_execz .LBB134_25
; %bb.24:
	s_waitcnt lgkmcnt(0)
	ds_load_b128 v[4:7], v17 offset:1024
	ds_load_b128 v[18:21], v17
	s_waitcnt lgkmcnt(0)
	v_add_f64 v[4:5], v[4:5], v[18:19]
	v_add_f64 v[6:7], v[6:7], v[20:21]
	ds_store_b128 v17, v[4:7]
.LBB134_25:
	s_or_b32 exec_lo, exec_lo, s0
	s_delay_alu instid0(SALU_CYCLE_1)
	s_mov_b32 s0, exec_lo
	s_waitcnt lgkmcnt(0)
	s_barrier
	buffer_gl0_inv
	v_cmpx_gt_u32_e32 32, v8
	s_cbranch_execz .LBB134_27
; %bb.26:
	ds_load_b128 v[4:7], v17 offset:512
	ds_load_b128 v[18:21], v17
	s_waitcnt lgkmcnt(0)
	v_add_f64 v[4:5], v[4:5], v[18:19]
	v_add_f64 v[6:7], v[6:7], v[20:21]
	ds_store_b128 v17, v[4:7]
.LBB134_27:
	s_or_b32 exec_lo, exec_lo, s0
	s_delay_alu instid0(SALU_CYCLE_1)
	s_mov_b32 s0, exec_lo
	s_waitcnt lgkmcnt(0)
	buffer_gl0_inv
	v_cmpx_lt_u32_e32 15, v8
	s_xor_b32 s0, exec_lo, s0
	s_cbranch_execz .LBB134_29
; %bb.28:
	buffer_gl0_inv
                                        ; implicit-def: $vgpr17
.LBB134_29:
	s_and_not1_saveexec_b32 s0, s0
	s_cbranch_execz .LBB134_31
; %bb.30:
	ds_load_b128 v[0:3], v17 offset:256
	ds_load_b128 v[4:7], v17
	s_waitcnt lgkmcnt(0)
	v_add_f64 v[0:1], v[0:1], v[4:5]
	v_add_f64 v[2:3], v[2:3], v[6:7]
	ds_store_b128 v17, v[0:3]
	s_waitcnt lgkmcnt(0)
	buffer_gl0_inv
	ds_load_b128 v[0:3], v17
.LBB134_31:
	s_or_b32 exec_lo, exec_lo, s0
	s_waitcnt lgkmcnt(0)
	v_dual_mov_b32 v7, v3 :: v_dual_mov_b32 v6, v2
	v_dual_mov_b32 v5, v1 :: v_dual_mov_b32 v4, v0
.LBB134_32:
	v_cmp_gt_u32_e32 vcc_lo, 16, v8
	s_and_b32 exec_lo, exec_lo, vcc_lo
	s_cbranch_execz .LBB134_37
; %bb.33:
	s_waitcnt lgkmcnt(0)
	v_mul_f64 v[0:1], v[6:7], -v[15:16]
	v_mul_f64 v[2:3], v[13:14], v[6:7]
	v_cmp_eq_f64_e32 vcc_lo, 0, v[9:10]
	v_cmp_eq_f64_e64 s0, 0, v[11:12]
	s_delay_alu instid0(VALU_DEP_4) | instskip(NEXT) | instid1(VALU_DEP_4)
	v_fma_f64 v[0:1], v[13:14], v[4:5], v[0:1]
	v_fma_f64 v[2:3], v[15:16], v[4:5], v[2:3]
	v_lshl_or_b32 v4, s12, 4, v8
	s_delay_alu instid0(VALU_DEP_4) | instskip(NEXT) | instid1(SALU_CYCLE_1)
	s_and_b32 s0, vcc_lo, s0
	s_and_saveexec_b32 s1, s0
	s_delay_alu instid0(SALU_CYCLE_1)
	s_xor_b32 s0, exec_lo, s1
	s_cbranch_execz .LBB134_35
; %bb.34:
	v_mov_b32_e32 v5, 0
                                        ; implicit-def: $vgpr9_vgpr10
                                        ; implicit-def: $vgpr11_vgpr12
	s_delay_alu instid0(VALU_DEP_1) | instskip(NEXT) | instid1(VALU_DEP_1)
	v_lshlrev_b64 v[4:5], 4, v[4:5]
	v_add_co_u32 v4, vcc_lo, s8, v4
	s_delay_alu instid0(VALU_DEP_2)
	v_add_co_ci_u32_e32 v5, vcc_lo, s9, v5, vcc_lo
	global_store_b128 v[4:5], v[0:3], off
                                        ; implicit-def: $vgpr4
                                        ; implicit-def: $vgpr0_vgpr1
.LBB134_35:
	s_and_not1_saveexec_b32 s0, s0
	s_cbranch_execz .LBB134_37
; %bb.36:
	v_mov_b32_e32 v5, 0
	s_delay_alu instid0(VALU_DEP_1) | instskip(NEXT) | instid1(VALU_DEP_1)
	v_lshlrev_b64 v[4:5], 4, v[4:5]
	v_add_co_u32 v13, vcc_lo, s8, v4
	s_delay_alu instid0(VALU_DEP_2) | instskip(SKIP_4) | instid1(VALU_DEP_2)
	v_add_co_ci_u32_e32 v14, vcc_lo, s9, v5, vcc_lo
	global_load_b128 v[4:7], v[13:14], off
	s_waitcnt vmcnt(0)
	v_fma_f64 v[0:1], v[9:10], v[4:5], v[0:1]
	v_fma_f64 v[2:3], v[11:12], v[4:5], v[2:3]
	v_fma_f64 v[0:1], -v[11:12], v[6:7], v[0:1]
	s_delay_alu instid0(VALU_DEP_2)
	v_fma_f64 v[2:3], v[9:10], v[6:7], v[2:3]
	global_store_b128 v[13:14], v[0:3], off
.LBB134_37:
	s_nop 0
	s_sendmsg sendmsg(MSG_DEALLOC_VGPRS)
	s_endpgm
	.section	.rodata,"a",@progbits
	.p2align	6, 0x0
	.amdhsa_kernel _ZN9rocsparseL22gebsrmvn_mxn_16_kernelILj112ELj16ELj7E21rocsparse_complex_numIdEEEvi20rocsparse_direction_NS_24const_host_device_scalarIT2_EEPKiS8_PKS5_iiSA_S6_PS5_21rocsparse_index_base_b
		.amdhsa_group_segment_fixed_size 3584
		.amdhsa_private_segment_fixed_size 0
		.amdhsa_kernarg_size 96
		.amdhsa_user_sgpr_count 15
		.amdhsa_user_sgpr_dispatch_ptr 1
		.amdhsa_user_sgpr_queue_ptr 0
		.amdhsa_user_sgpr_kernarg_segment_ptr 1
		.amdhsa_user_sgpr_dispatch_id 0
		.amdhsa_user_sgpr_private_segment_size 0
		.amdhsa_wavefront_size32 1
		.amdhsa_uses_dynamic_stack 0
		.amdhsa_enable_private_segment 0
		.amdhsa_system_sgpr_workgroup_id_x 1
		.amdhsa_system_sgpr_workgroup_id_y 0
		.amdhsa_system_sgpr_workgroup_id_z 0
		.amdhsa_system_sgpr_workgroup_info 0
		.amdhsa_system_vgpr_workitem_id 2
		.amdhsa_next_free_vgpr 28
		.amdhsa_next_free_sgpr 18
		.amdhsa_reserve_vcc 1
		.amdhsa_float_round_mode_32 0
		.amdhsa_float_round_mode_16_64 0
		.amdhsa_float_denorm_mode_32 3
		.amdhsa_float_denorm_mode_16_64 3
		.amdhsa_dx10_clamp 1
		.amdhsa_ieee_mode 1
		.amdhsa_fp16_overflow 0
		.amdhsa_workgroup_processor_mode 1
		.amdhsa_memory_ordered 1
		.amdhsa_forward_progress 0
		.amdhsa_shared_vgpr_count 0
		.amdhsa_exception_fp_ieee_invalid_op 0
		.amdhsa_exception_fp_denorm_src 0
		.amdhsa_exception_fp_ieee_div_zero 0
		.amdhsa_exception_fp_ieee_overflow 0
		.amdhsa_exception_fp_ieee_underflow 0
		.amdhsa_exception_fp_ieee_inexact 0
		.amdhsa_exception_int_div_zero 0
	.end_amdhsa_kernel
	.section	.text._ZN9rocsparseL22gebsrmvn_mxn_16_kernelILj112ELj16ELj7E21rocsparse_complex_numIdEEEvi20rocsparse_direction_NS_24const_host_device_scalarIT2_EEPKiS8_PKS5_iiSA_S6_PS5_21rocsparse_index_base_b,"axG",@progbits,_ZN9rocsparseL22gebsrmvn_mxn_16_kernelILj112ELj16ELj7E21rocsparse_complex_numIdEEEvi20rocsparse_direction_NS_24const_host_device_scalarIT2_EEPKiS8_PKS5_iiSA_S6_PS5_21rocsparse_index_base_b,comdat
.Lfunc_end134:
	.size	_ZN9rocsparseL22gebsrmvn_mxn_16_kernelILj112ELj16ELj7E21rocsparse_complex_numIdEEEvi20rocsparse_direction_NS_24const_host_device_scalarIT2_EEPKiS8_PKS5_iiSA_S6_PS5_21rocsparse_index_base_b, .Lfunc_end134-_ZN9rocsparseL22gebsrmvn_mxn_16_kernelILj112ELj16ELj7E21rocsparse_complex_numIdEEEvi20rocsparse_direction_NS_24const_host_device_scalarIT2_EEPKiS8_PKS5_iiSA_S6_PS5_21rocsparse_index_base_b
                                        ; -- End function
	.section	.AMDGPU.csdata,"",@progbits
; Kernel info:
; codeLenInByte = 1752
; NumSgprs: 20
; NumVgprs: 28
; ScratchSize: 0
; MemoryBound: 0
; FloatMode: 240
; IeeeMode: 1
; LDSByteSize: 3584 bytes/workgroup (compile time only)
; SGPRBlocks: 2
; VGPRBlocks: 3
; NumSGPRsForWavesPerEU: 20
; NumVGPRsForWavesPerEU: 28
; Occupancy: 16
; WaveLimiterHint : 1
; COMPUTE_PGM_RSRC2:SCRATCH_EN: 0
; COMPUTE_PGM_RSRC2:USER_SGPR: 15
; COMPUTE_PGM_RSRC2:TRAP_HANDLER: 0
; COMPUTE_PGM_RSRC2:TGID_X_EN: 1
; COMPUTE_PGM_RSRC2:TGID_Y_EN: 0
; COMPUTE_PGM_RSRC2:TGID_Z_EN: 0
; COMPUTE_PGM_RSRC2:TIDIG_COMP_CNT: 2
	.section	.text._ZN9rocsparseL22gebsrmvn_mxn_16_kernelILj128ELj16ELj8E21rocsparse_complex_numIdEEEvi20rocsparse_direction_NS_24const_host_device_scalarIT2_EEPKiS8_PKS5_iiSA_S6_PS5_21rocsparse_index_base_b,"axG",@progbits,_ZN9rocsparseL22gebsrmvn_mxn_16_kernelILj128ELj16ELj8E21rocsparse_complex_numIdEEEvi20rocsparse_direction_NS_24const_host_device_scalarIT2_EEPKiS8_PKS5_iiSA_S6_PS5_21rocsparse_index_base_b,comdat
	.globl	_ZN9rocsparseL22gebsrmvn_mxn_16_kernelILj128ELj16ELj8E21rocsparse_complex_numIdEEEvi20rocsparse_direction_NS_24const_host_device_scalarIT2_EEPKiS8_PKS5_iiSA_S6_PS5_21rocsparse_index_base_b ; -- Begin function _ZN9rocsparseL22gebsrmvn_mxn_16_kernelILj128ELj16ELj8E21rocsparse_complex_numIdEEEvi20rocsparse_direction_NS_24const_host_device_scalarIT2_EEPKiS8_PKS5_iiSA_S6_PS5_21rocsparse_index_base_b
	.p2align	8
	.type	_ZN9rocsparseL22gebsrmvn_mxn_16_kernelILj128ELj16ELj8E21rocsparse_complex_numIdEEEvi20rocsparse_direction_NS_24const_host_device_scalarIT2_EEPKiS8_PKS5_iiSA_S6_PS5_21rocsparse_index_base_b,@function
_ZN9rocsparseL22gebsrmvn_mxn_16_kernelILj128ELj16ELj8E21rocsparse_complex_numIdEEEvi20rocsparse_direction_NS_24const_host_device_scalarIT2_EEPKiS8_PKS5_iiSA_S6_PS5_21rocsparse_index_base_b: ; @_ZN9rocsparseL22gebsrmvn_mxn_16_kernelILj128ELj16ELj8E21rocsparse_complex_numIdEEEvi20rocsparse_direction_NS_24const_host_device_scalarIT2_EEPKiS8_PKS5_iiSA_S6_PS5_21rocsparse_index_base_b
; %bb.0:
	s_mov_b32 s12, s15
	s_load_b64 s[14:15], s[2:3], 0x58
	s_load_b64 s[16:17], s[0:1], 0x4
	s_load_b128 s[8:11], s[2:3], 0x8
	v_bfe_u32 v1, v0, 10, 10
	s_mov_b64 s[0:1], src_shared_base
	s_load_b128 s[4:7], s[2:3], 0x40
	v_and_b32_e32 v16, 0x3ff, v0
	v_bfe_u32 v0, v0, 20, 10
	s_waitcnt lgkmcnt(0)
	s_bitcmp1_b32 s15, 0
	v_mul_u32_u24_e32 v1, s17, v1
	s_cselect_b32 s0, -1, 0
	v_mov_b32_e32 v15, s11
	s_and_b32 vcc_lo, s0, exec_lo
	s_cselect_b32 s13, s1, s9
	s_lshr_b32 s15, s16, 16
	v_mov_b32_e32 v2, s4
	s_mul_i32 s15, s15, s17
	v_mov_b32_e32 v14, s10
	v_mad_u32_u24 v1, s15, v16, v1
	s_xor_b32 s10, s0, -1
	v_mov_b32_e32 v5, s13
	v_mov_b32_e32 v3, s5
	s_delay_alu instid0(VALU_DEP_3) | instskip(SKIP_1) | instid1(VALU_DEP_2)
	v_add_lshl_u32 v6, v1, v0, 3
	v_dual_mov_b32 v0, s8 :: v_dual_mov_b32 v1, s9
	v_add_nc_u32_e32 v4, 0xc00, v6
	ds_store_2addr_stride64_b64 v6, v[2:3], v[0:1] offset0:4 offset1:6
	v_add_nc_u32_e32 v0, 0x800, v6
	v_cndmask_b32_e64 v4, s8, v4, s0
	flat_load_b64 v[12:13], v[4:5]
	s_cbranch_vccnz .LBB135_2
; %bb.1:
	v_dual_mov_b32 v1, s8 :: v_dual_mov_b32 v2, s9
	flat_load_b64 v[14:15], v[1:2] offset:8
.LBB135_2:
	s_and_b32 s8, s0, exec_lo
	s_cselect_b32 s1, s1, s5
	v_cndmask_b32_e64 v0, s4, v0, s0
	v_mov_b32_e32 v1, s1
	v_dual_mov_b32 v11, s7 :: v_dual_mov_b32 v10, s6
	s_and_not1_b32 vcc_lo, exec_lo, s10
	flat_load_b64 v[8:9], v[0:1]
	s_cbranch_vccnz .LBB135_4
; %bb.3:
	v_dual_mov_b32 v0, s4 :: v_dual_mov_b32 v1, s5
	flat_load_b64 v[10:11], v[0:1] offset:8
.LBB135_4:
	s_waitcnt vmcnt(1) lgkmcnt(1)
	v_cmp_eq_f64_e32 vcc_lo, 0, v[12:13]
	v_cmp_eq_f64_e64 s0, 0, v[14:15]
	s_delay_alu instid0(VALU_DEP_1)
	s_and_b32 s4, vcc_lo, s0
	s_mov_b32 s0, -1
	s_and_saveexec_b32 s1, s4
	s_cbranch_execz .LBB135_6
; %bb.5:
	s_waitcnt vmcnt(0) lgkmcnt(0)
	v_cmp_neq_f64_e32 vcc_lo, 1.0, v[8:9]
	v_cmp_neq_f64_e64 s0, 0, v[10:11]
	s_delay_alu instid0(VALU_DEP_1) | instskip(NEXT) | instid1(SALU_CYCLE_1)
	s_or_b32 s0, vcc_lo, s0
	s_or_not1_b32 s0, s0, exec_lo
.LBB135_6:
	s_or_b32 exec_lo, exec_lo, s1
	s_and_saveexec_b32 s1, s0
	s_cbranch_execz .LBB135_37
; %bb.7:
	s_clause 0x1
	s_load_b32 s4, s[2:3], 0x4
	s_load_b64 s[0:1], s[2:3], 0x18
	v_mov_b32_e32 v2, 0
	v_dual_mov_b32 v3, 0 :: v_dual_and_b32 v6, 7, v16
	s_delay_alu instid0(VALU_DEP_1)
	v_dual_mov_b32 v0, v2 :: v_dual_mov_b32 v1, v3
	s_waitcnt lgkmcnt(0)
	s_cmp_eq_u32 s4, 1
	s_cselect_b32 vcc_lo, -1, 0
	s_cmp_lg_u32 s4, 1
	s_cselect_b32 s15, -1, 0
	s_ashr_i32 s13, s12, 31
	s_delay_alu instid0(SALU_CYCLE_1) | instskip(NEXT) | instid1(SALU_CYCLE_1)
	s_lshl_b64 s[4:5], s[12:13], 2
	s_add_u32 s0, s0, s4
	s_addc_u32 s1, s1, s5
	s_load_b64 s[10:11], s[0:1], 0x0
	s_load_b64 s[8:9], s[2:3], 0x50
	s_waitcnt lgkmcnt(0)
	s_cmp_ge_i32 s10, s11
	s_cbranch_scc1 .LBB135_12
; %bb.8:
	s_clause 0x1
	s_load_b128 s[4:7], s[2:3], 0x20
	s_load_b64 s[0:1], s[2:3], 0x38
	v_lshrrev_b32_e32 v0, 4, v16
	v_lshl_or_b32 v1, s10, 7, v16
	v_mov_b32_e32 v2, 0
	v_mov_b32_e32 v3, 0
	s_lshl_b32 s2, s14, 7
	v_cndmask_b32_e32 v7, v6, v0, vcc_lo
	v_subrev_nc_u32_e32 v4, s2, v1
	v_dual_mov_b32 v5, 0 :: v_dual_mov_b32 v0, v2
	v_mov_b32_e32 v1, v3
	s_sub_i32 s2, s11, s14
	s_sub_i32 s3, s10, s14
	s_set_inst_prefetch_distance 0x1
	s_branch .LBB135_10
	.p2align	6
.LBB135_9:                              ;   in Loop: Header=BB135_10 Depth=1
	s_or_b32 exec_lo, exec_lo, s10
	v_add_nc_u32_e32 v4, 0x80, v4
	s_add_i32 s3, s3, 1
	s_delay_alu instid0(SALU_CYCLE_1)
	s_cmp_ge_i32 s3, s2
	s_cbranch_scc1 .LBB135_12
.LBB135_10:                             ; =>This Inner Loop Header: Depth=1
	s_cmp_lt_i32 s3, s2
	s_cselect_b32 s11, -1, 0
	s_delay_alu instid0(SALU_CYCLE_1)
	s_and_saveexec_b32 s10, s11
	s_cbranch_execz .LBB135_9
; %bb.11:                               ;   in Loop: Header=BB135_10 Depth=1
	v_mov_b32_e32 v17, s3
	v_ashrrev_i32_e64 v18, 31, s3
	v_lshlrev_b64 v[19:20], 4, v[4:5]
	s_delay_alu instid0(VALU_DEP_2) | instskip(SKIP_1) | instid1(VALU_DEP_1)
	v_lshlrev_b64 v[17:18], 2, v[17:18]
	s_waitcnt lgkmcnt(0)
	v_add_co_u32 v17, vcc_lo, s4, v17
	s_delay_alu instid0(VALU_DEP_2) | instskip(NEXT) | instid1(VALU_DEP_4)
	v_add_co_ci_u32_e32 v18, vcc_lo, s5, v18, vcc_lo
	v_add_co_u32 v19, vcc_lo, s6, v19
	v_add_co_ci_u32_e32 v20, vcc_lo, s7, v20, vcc_lo
	global_load_b32 v17, v[17:18], off
	s_waitcnt vmcnt(0)
	v_subrev_nc_u32_e32 v17, s14, v17
	s_delay_alu instid0(VALU_DEP_1) | instskip(NEXT) | instid1(VALU_DEP_1)
	v_lshl_or_b32 v17, v17, 3, v7
	v_ashrrev_i32_e32 v18, 31, v17
	s_delay_alu instid0(VALU_DEP_1) | instskip(NEXT) | instid1(VALU_DEP_1)
	v_lshlrev_b64 v[17:18], 4, v[17:18]
	v_add_co_u32 v21, vcc_lo, s0, v17
	s_delay_alu instid0(VALU_DEP_2)
	v_add_co_ci_u32_e32 v22, vcc_lo, s1, v18, vcc_lo
	global_load_b128 v[17:20], v[19:20], off
	global_load_b128 v[21:24], v[21:22], off
	s_waitcnt vmcnt(0)
	v_fma_f64 v[0:1], v[17:18], v[21:22], v[0:1]
	v_fma_f64 v[2:3], v[19:20], v[21:22], v[2:3]
	s_delay_alu instid0(VALU_DEP_2) | instskip(NEXT) | instid1(VALU_DEP_2)
	v_fma_f64 v[0:1], -v[19:20], v[23:24], v[0:1]
	v_fma_f64 v[2:3], v[17:18], v[23:24], v[2:3]
	s_branch .LBB135_9
.LBB135_12:
	s_set_inst_prefetch_distance 0x2
	v_lshlrev_b32_e32 v17, 4, v16
	s_and_b32 vcc_lo, exec_lo, s15
	ds_store_b128 v17, v[0:3]
	s_waitcnt vmcnt(0) lgkmcnt(0)
	s_barrier
	buffer_gl0_inv
	s_cbranch_vccz .LBB135_22
; %bb.13:
	s_mov_b32 s0, exec_lo
	v_cmpx_gt_u32_e32 4, v6
	s_cbranch_execz .LBB135_15
; %bb.14:
	ds_load_b128 v[18:21], v17 offset:64
	ds_load_b128 v[22:25], v17
	s_waitcnt lgkmcnt(0)
	v_add_f64 v[18:19], v[18:19], v[22:23]
	v_add_f64 v[20:21], v[20:21], v[24:25]
	ds_store_b128 v17, v[18:21]
.LBB135_15:
	s_or_b32 exec_lo, exec_lo, s0
	s_delay_alu instid0(SALU_CYCLE_1)
	s_mov_b32 s0, exec_lo
	s_waitcnt lgkmcnt(0)
	s_barrier
	buffer_gl0_inv
	v_cmpx_gt_u32_e32 2, v6
	s_cbranch_execz .LBB135_17
; %bb.16:
	ds_load_b128 v[18:21], v17
	ds_load_b128 v[22:25], v17 offset:32
	s_waitcnt lgkmcnt(0)
	v_add_f64 v[18:19], v[22:23], v[18:19]
	v_add_f64 v[20:21], v[24:25], v[20:21]
	ds_store_b128 v17, v[18:21]
.LBB135_17:
	s_or_b32 exec_lo, exec_lo, s0
	s_delay_alu instid0(SALU_CYCLE_1)
	s_mov_b32 s0, exec_lo
	s_waitcnt lgkmcnt(0)
	s_barrier
	buffer_gl0_inv
	v_cmpx_eq_u32_e32 0, v6
	s_cbranch_execz .LBB135_19
; %bb.18:
	ds_load_b128 v[4:7], v17
	ds_load_b128 v[18:21], v17 offset:16
	s_waitcnt lgkmcnt(0)
	v_add_f64 v[4:5], v[18:19], v[4:5]
	v_add_f64 v[6:7], v[20:21], v[6:7]
	ds_store_b128 v17, v[4:7]
.LBB135_19:
	s_or_b32 exec_lo, exec_lo, s0
	v_dual_mov_b32 v7, v3 :: v_dual_mov_b32 v6, v2
	v_dual_mov_b32 v5, v1 :: v_dual_mov_b32 v4, v0
	s_mov_b32 s0, exec_lo
	s_waitcnt lgkmcnt(0)
	s_barrier
	buffer_gl0_inv
	v_cmpx_gt_u32_e32 16, v16
	s_cbranch_execz .LBB135_21
; %bb.20:
	v_mad_u32_u24 v4, 0x70, v16, v17
	ds_load_b128 v[4:7], v4
.LBB135_21:
	s_or_b32 exec_lo, exec_lo, s0
	s_branch .LBB135_32
.LBB135_22:
                                        ; implicit-def: $vgpr6_vgpr7
	s_cbranch_execz .LBB135_32
; %bb.23:
	s_mov_b32 s0, exec_lo
	v_cmpx_gt_u32_e32 64, v16
	s_cbranch_execz .LBB135_25
; %bb.24:
	s_waitcnt lgkmcnt(0)
	ds_load_b128 v[4:7], v17 offset:1024
	ds_load_b128 v[18:21], v17
	s_waitcnt lgkmcnt(0)
	v_add_f64 v[4:5], v[4:5], v[18:19]
	v_add_f64 v[6:7], v[6:7], v[20:21]
	ds_store_b128 v17, v[4:7]
.LBB135_25:
	s_or_b32 exec_lo, exec_lo, s0
	s_delay_alu instid0(SALU_CYCLE_1)
	s_mov_b32 s0, exec_lo
	s_waitcnt lgkmcnt(0)
	s_barrier
	buffer_gl0_inv
	v_cmpx_gt_u32_e32 32, v16
	s_cbranch_execz .LBB135_27
; %bb.26:
	ds_load_b128 v[4:7], v17 offset:512
	ds_load_b128 v[18:21], v17
	s_waitcnt lgkmcnt(0)
	v_add_f64 v[4:5], v[4:5], v[18:19]
	v_add_f64 v[6:7], v[6:7], v[20:21]
	ds_store_b128 v17, v[4:7]
.LBB135_27:
	s_or_b32 exec_lo, exec_lo, s0
	s_delay_alu instid0(SALU_CYCLE_1)
	s_mov_b32 s0, exec_lo
	s_waitcnt lgkmcnt(0)
	buffer_gl0_inv
	v_cmpx_lt_u32_e32 15, v16
	s_xor_b32 s0, exec_lo, s0
	s_cbranch_execz .LBB135_29
; %bb.28:
	buffer_gl0_inv
                                        ; implicit-def: $vgpr17
.LBB135_29:
	s_and_not1_saveexec_b32 s0, s0
	s_cbranch_execz .LBB135_31
; %bb.30:
	ds_load_b128 v[0:3], v17 offset:256
	ds_load_b128 v[4:7], v17
	s_waitcnt lgkmcnt(0)
	v_add_f64 v[0:1], v[0:1], v[4:5]
	v_add_f64 v[2:3], v[2:3], v[6:7]
	ds_store_b128 v17, v[0:3]
	s_waitcnt lgkmcnt(0)
	buffer_gl0_inv
	ds_load_b128 v[0:3], v17
.LBB135_31:
	s_or_b32 exec_lo, exec_lo, s0
	s_waitcnt lgkmcnt(0)
	v_dual_mov_b32 v7, v3 :: v_dual_mov_b32 v6, v2
	v_dual_mov_b32 v5, v1 :: v_dual_mov_b32 v4, v0
.LBB135_32:
	v_cmp_gt_u32_e32 vcc_lo, 16, v16
	s_and_b32 exec_lo, exec_lo, vcc_lo
	s_cbranch_execz .LBB135_37
; %bb.33:
	s_waitcnt lgkmcnt(0)
	v_mul_f64 v[0:1], v[6:7], -v[14:15]
	v_mul_f64 v[2:3], v[12:13], v[6:7]
	v_cmp_eq_f64_e32 vcc_lo, 0, v[8:9]
	v_cmp_eq_f64_e64 s0, 0, v[10:11]
	s_delay_alu instid0(VALU_DEP_4) | instskip(NEXT) | instid1(VALU_DEP_4)
	v_fma_f64 v[0:1], v[12:13], v[4:5], v[0:1]
	v_fma_f64 v[2:3], v[14:15], v[4:5], v[2:3]
	v_lshl_or_b32 v4, s12, 4, v16
	s_delay_alu instid0(VALU_DEP_4) | instskip(NEXT) | instid1(SALU_CYCLE_1)
	s_and_b32 s0, vcc_lo, s0
	s_and_saveexec_b32 s1, s0
	s_delay_alu instid0(SALU_CYCLE_1)
	s_xor_b32 s0, exec_lo, s1
	s_cbranch_execz .LBB135_35
; %bb.34:
	v_mov_b32_e32 v5, 0
                                        ; implicit-def: $vgpr8_vgpr9
                                        ; implicit-def: $vgpr10_vgpr11
	s_delay_alu instid0(VALU_DEP_1) | instskip(NEXT) | instid1(VALU_DEP_1)
	v_lshlrev_b64 v[4:5], 4, v[4:5]
	v_add_co_u32 v4, vcc_lo, s8, v4
	s_delay_alu instid0(VALU_DEP_2)
	v_add_co_ci_u32_e32 v5, vcc_lo, s9, v5, vcc_lo
	global_store_b128 v[4:5], v[0:3], off
                                        ; implicit-def: $vgpr4
                                        ; implicit-def: $vgpr0_vgpr1
.LBB135_35:
	s_and_not1_saveexec_b32 s0, s0
	s_cbranch_execz .LBB135_37
; %bb.36:
	v_mov_b32_e32 v5, 0
	s_delay_alu instid0(VALU_DEP_1) | instskip(NEXT) | instid1(VALU_DEP_1)
	v_lshlrev_b64 v[4:5], 4, v[4:5]
	v_add_co_u32 v12, vcc_lo, s8, v4
	s_delay_alu instid0(VALU_DEP_2) | instskip(SKIP_4) | instid1(VALU_DEP_2)
	v_add_co_ci_u32_e32 v13, vcc_lo, s9, v5, vcc_lo
	global_load_b128 v[4:7], v[12:13], off
	s_waitcnt vmcnt(0)
	v_fma_f64 v[0:1], v[8:9], v[4:5], v[0:1]
	v_fma_f64 v[2:3], v[10:11], v[4:5], v[2:3]
	v_fma_f64 v[0:1], -v[10:11], v[6:7], v[0:1]
	s_delay_alu instid0(VALU_DEP_2)
	v_fma_f64 v[2:3], v[8:9], v[6:7], v[2:3]
	global_store_b128 v[12:13], v[0:3], off
.LBB135_37:
	s_nop 0
	s_sendmsg sendmsg(MSG_DEALLOC_VGPRS)
	s_endpgm
	.section	.rodata,"a",@progbits
	.p2align	6, 0x0
	.amdhsa_kernel _ZN9rocsparseL22gebsrmvn_mxn_16_kernelILj128ELj16ELj8E21rocsparse_complex_numIdEEEvi20rocsparse_direction_NS_24const_host_device_scalarIT2_EEPKiS8_PKS5_iiSA_S6_PS5_21rocsparse_index_base_b
		.amdhsa_group_segment_fixed_size 4096
		.amdhsa_private_segment_fixed_size 0
		.amdhsa_kernarg_size 96
		.amdhsa_user_sgpr_count 15
		.amdhsa_user_sgpr_dispatch_ptr 1
		.amdhsa_user_sgpr_queue_ptr 0
		.amdhsa_user_sgpr_kernarg_segment_ptr 1
		.amdhsa_user_sgpr_dispatch_id 0
		.amdhsa_user_sgpr_private_segment_size 0
		.amdhsa_wavefront_size32 1
		.amdhsa_uses_dynamic_stack 0
		.amdhsa_enable_private_segment 0
		.amdhsa_system_sgpr_workgroup_id_x 1
		.amdhsa_system_sgpr_workgroup_id_y 0
		.amdhsa_system_sgpr_workgroup_id_z 0
		.amdhsa_system_sgpr_workgroup_info 0
		.amdhsa_system_vgpr_workitem_id 2
		.amdhsa_next_free_vgpr 26
		.amdhsa_next_free_sgpr 18
		.amdhsa_reserve_vcc 1
		.amdhsa_float_round_mode_32 0
		.amdhsa_float_round_mode_16_64 0
		.amdhsa_float_denorm_mode_32 3
		.amdhsa_float_denorm_mode_16_64 3
		.amdhsa_dx10_clamp 1
		.amdhsa_ieee_mode 1
		.amdhsa_fp16_overflow 0
		.amdhsa_workgroup_processor_mode 1
		.amdhsa_memory_ordered 1
		.amdhsa_forward_progress 0
		.amdhsa_shared_vgpr_count 0
		.amdhsa_exception_fp_ieee_invalid_op 0
		.amdhsa_exception_fp_denorm_src 0
		.amdhsa_exception_fp_ieee_div_zero 0
		.amdhsa_exception_fp_ieee_overflow 0
		.amdhsa_exception_fp_ieee_underflow 0
		.amdhsa_exception_fp_ieee_inexact 0
		.amdhsa_exception_int_div_zero 0
	.end_amdhsa_kernel
	.section	.text._ZN9rocsparseL22gebsrmvn_mxn_16_kernelILj128ELj16ELj8E21rocsparse_complex_numIdEEEvi20rocsparse_direction_NS_24const_host_device_scalarIT2_EEPKiS8_PKS5_iiSA_S6_PS5_21rocsparse_index_base_b,"axG",@progbits,_ZN9rocsparseL22gebsrmvn_mxn_16_kernelILj128ELj16ELj8E21rocsparse_complex_numIdEEEvi20rocsparse_direction_NS_24const_host_device_scalarIT2_EEPKiS8_PKS5_iiSA_S6_PS5_21rocsparse_index_base_b,comdat
.Lfunc_end135:
	.size	_ZN9rocsparseL22gebsrmvn_mxn_16_kernelILj128ELj16ELj8E21rocsparse_complex_numIdEEEvi20rocsparse_direction_NS_24const_host_device_scalarIT2_EEPKiS8_PKS5_iiSA_S6_PS5_21rocsparse_index_base_b, .Lfunc_end135-_ZN9rocsparseL22gebsrmvn_mxn_16_kernelILj128ELj16ELj8E21rocsparse_complex_numIdEEEvi20rocsparse_direction_NS_24const_host_device_scalarIT2_EEPKiS8_PKS5_iiSA_S6_PS5_21rocsparse_index_base_b
                                        ; -- End function
	.section	.AMDGPU.csdata,"",@progbits
; Kernel info:
; codeLenInByte = 1628
; NumSgprs: 20
; NumVgprs: 26
; ScratchSize: 0
; MemoryBound: 0
; FloatMode: 240
; IeeeMode: 1
; LDSByteSize: 4096 bytes/workgroup (compile time only)
; SGPRBlocks: 2
; VGPRBlocks: 3
; NumSGPRsForWavesPerEU: 20
; NumVGPRsForWavesPerEU: 26
; Occupancy: 16
; WaveLimiterHint : 1
; COMPUTE_PGM_RSRC2:SCRATCH_EN: 0
; COMPUTE_PGM_RSRC2:USER_SGPR: 15
; COMPUTE_PGM_RSRC2:TRAP_HANDLER: 0
; COMPUTE_PGM_RSRC2:TGID_X_EN: 1
; COMPUTE_PGM_RSRC2:TGID_Y_EN: 0
; COMPUTE_PGM_RSRC2:TGID_Z_EN: 0
; COMPUTE_PGM_RSRC2:TIDIG_COMP_CNT: 2
	.text
	.p2alignl 7, 3214868480
	.fill 96, 4, 3214868480
	.type	__hip_cuid_10e1d34c2ea8b48,@object ; @__hip_cuid_10e1d34c2ea8b48
	.section	.bss,"aw",@nobits
	.globl	__hip_cuid_10e1d34c2ea8b48
__hip_cuid_10e1d34c2ea8b48:
	.byte	0                               ; 0x0
	.size	__hip_cuid_10e1d34c2ea8b48, 1

	.ident	"AMD clang version 19.0.0git (https://github.com/RadeonOpenCompute/llvm-project roc-6.4.0 25133 c7fe45cf4b819c5991fe208aaa96edf142730f1d)"
	.section	".note.GNU-stack","",@progbits
	.addrsig
	.addrsig_sym __hip_cuid_10e1d34c2ea8b48
	.amdgpu_metadata
---
amdhsa.kernels:
  - .args:
      - .offset:         0
        .size:           4
        .value_kind:     by_value
      - .offset:         4
        .size:           4
        .value_kind:     by_value
      - .offset:         8
        .size:           8
        .value_kind:     by_value
      - .actual_access:  read_only
        .address_space:  global
        .offset:         16
        .size:           8
        .value_kind:     global_buffer
      - .actual_access:  read_only
        .address_space:  global
        .offset:         24
        .size:           8
        .value_kind:     global_buffer
      - .actual_access:  read_only
        .address_space:  global
        .offset:         32
        .size:           8
        .value_kind:     global_buffer
      - .offset:         40
        .size:           4
        .value_kind:     by_value
      - .offset:         44
        .size:           4
        .value_kind:     by_value
      - .actual_access:  read_only
        .address_space:  global
        .offset:         48
        .size:           8
        .value_kind:     global_buffer
      - .offset:         56
        .size:           8
        .value_kind:     by_value
      - .address_space:  global
        .offset:         64
        .size:           8
        .value_kind:     global_buffer
      - .offset:         72
        .size:           4
        .value_kind:     by_value
      - .offset:         76
        .size:           1
        .value_kind:     by_value
    .group_segment_fixed_size: 208
    .kernarg_segment_align: 8
    .kernarg_segment_size: 80
    .language:       OpenCL C
    .language_version:
      - 2
      - 0
    .max_flat_workgroup_size: 52
    .name:           _ZN9rocsparseL22gebsrmvn_mxn_16_kernelILj52ELj13ELj1EfEEvi20rocsparse_direction_NS_24const_host_device_scalarIT2_EEPKiS6_PKS3_iiS8_S4_PS3_21rocsparse_index_base_b
    .private_segment_fixed_size: 0
    .sgpr_count:     20
    .sgpr_spill_count: 0
    .symbol:         _ZN9rocsparseL22gebsrmvn_mxn_16_kernelILj52ELj13ELj1EfEEvi20rocsparse_direction_NS_24const_host_device_scalarIT2_EEPKiS6_PKS3_iiS8_S4_PS3_21rocsparse_index_base_b.kd
    .uniform_work_group_size: 1
    .uses_dynamic_stack: false
    .vgpr_count:     9
    .vgpr_spill_count: 0
    .wavefront_size: 32
    .workgroup_processor_mode: 1
  - .args:
      - .offset:         0
        .size:           4
        .value_kind:     by_value
      - .offset:         4
        .size:           4
        .value_kind:     by_value
      - .offset:         8
        .size:           8
        .value_kind:     by_value
      - .actual_access:  read_only
        .address_space:  global
        .offset:         16
        .size:           8
        .value_kind:     global_buffer
      - .actual_access:  read_only
        .address_space:  global
        .offset:         24
        .size:           8
        .value_kind:     global_buffer
      - .actual_access:  read_only
        .address_space:  global
        .offset:         32
        .size:           8
        .value_kind:     global_buffer
      - .offset:         40
        .size:           4
        .value_kind:     by_value
      - .offset:         44
        .size:           4
        .value_kind:     by_value
      - .actual_access:  read_only
        .address_space:  global
        .offset:         48
        .size:           8
        .value_kind:     global_buffer
      - .offset:         56
        .size:           8
        .value_kind:     by_value
      - .address_space:  global
        .offset:         64
        .size:           8
        .value_kind:     global_buffer
      - .offset:         72
        .size:           4
        .value_kind:     by_value
      - .offset:         76
        .size:           1
        .value_kind:     by_value
    .group_segment_fixed_size: 208
    .kernarg_segment_align: 8
    .kernarg_segment_size: 80
    .language:       OpenCL C
    .language_version:
      - 2
      - 0
    .max_flat_workgroup_size: 52
    .name:           _ZN9rocsparseL22gebsrmvn_mxn_16_kernelILj52ELj13ELj2EfEEvi20rocsparse_direction_NS_24const_host_device_scalarIT2_EEPKiS6_PKS3_iiS8_S4_PS3_21rocsparse_index_base_b
    .private_segment_fixed_size: 0
    .sgpr_count:     20
    .sgpr_spill_count: 0
    .symbol:         _ZN9rocsparseL22gebsrmvn_mxn_16_kernelILj52ELj13ELj2EfEEvi20rocsparse_direction_NS_24const_host_device_scalarIT2_EEPKiS6_PKS3_iiS8_S4_PS3_21rocsparse_index_base_b.kd
    .uniform_work_group_size: 1
    .uses_dynamic_stack: false
    .vgpr_count:     11
    .vgpr_spill_count: 0
    .wavefront_size: 32
    .workgroup_processor_mode: 1
  - .args:
      - .offset:         0
        .size:           4
        .value_kind:     by_value
      - .offset:         4
        .size:           4
        .value_kind:     by_value
      - .offset:         8
        .size:           8
        .value_kind:     by_value
      - .actual_access:  read_only
        .address_space:  global
        .offset:         16
        .size:           8
        .value_kind:     global_buffer
      - .actual_access:  read_only
        .address_space:  global
        .offset:         24
        .size:           8
        .value_kind:     global_buffer
      - .actual_access:  read_only
        .address_space:  global
        .offset:         32
        .size:           8
        .value_kind:     global_buffer
      - .offset:         40
        .size:           4
        .value_kind:     by_value
      - .offset:         44
        .size:           4
        .value_kind:     by_value
      - .actual_access:  read_only
        .address_space:  global
        .offset:         48
        .size:           8
        .value_kind:     global_buffer
      - .offset:         56
        .size:           8
        .value_kind:     by_value
      - .address_space:  global
        .offset:         64
        .size:           8
        .value_kind:     global_buffer
      - .offset:         72
        .size:           4
        .value_kind:     by_value
      - .offset:         76
        .size:           1
        .value_kind:     by_value
    .group_segment_fixed_size: 156
    .kernarg_segment_align: 8
    .kernarg_segment_size: 80
    .language:       OpenCL C
    .language_version:
      - 2
      - 0
    .max_flat_workgroup_size: 39
    .name:           _ZN9rocsparseL22gebsrmvn_mxn_16_kernelILj39ELj13ELj3EfEEvi20rocsparse_direction_NS_24const_host_device_scalarIT2_EEPKiS6_PKS3_iiS8_S4_PS3_21rocsparse_index_base_b
    .private_segment_fixed_size: 0
    .sgpr_count:     20
    .sgpr_spill_count: 0
    .symbol:         _ZN9rocsparseL22gebsrmvn_mxn_16_kernelILj39ELj13ELj3EfEEvi20rocsparse_direction_NS_24const_host_device_scalarIT2_EEPKiS6_PKS3_iiS8_S4_PS3_21rocsparse_index_base_b.kd
    .uniform_work_group_size: 1
    .uses_dynamic_stack: false
    .vgpr_count:     11
    .vgpr_spill_count: 0
    .wavefront_size: 32
    .workgroup_processor_mode: 1
  - .args:
      - .offset:         0
        .size:           4
        .value_kind:     by_value
      - .offset:         4
        .size:           4
        .value_kind:     by_value
      - .offset:         8
        .size:           8
        .value_kind:     by_value
      - .actual_access:  read_only
        .address_space:  global
        .offset:         16
        .size:           8
        .value_kind:     global_buffer
      - .actual_access:  read_only
        .address_space:  global
        .offset:         24
        .size:           8
        .value_kind:     global_buffer
      - .actual_access:  read_only
        .address_space:  global
        .offset:         32
        .size:           8
        .value_kind:     global_buffer
      - .offset:         40
        .size:           4
        .value_kind:     by_value
      - .offset:         44
        .size:           4
        .value_kind:     by_value
      - .actual_access:  read_only
        .address_space:  global
        .offset:         48
        .size:           8
        .value_kind:     global_buffer
      - .offset:         56
        .size:           8
        .value_kind:     by_value
      - .address_space:  global
        .offset:         64
        .size:           8
        .value_kind:     global_buffer
      - .offset:         72
        .size:           4
        .value_kind:     by_value
      - .offset:         76
        .size:           1
        .value_kind:     by_value
    .group_segment_fixed_size: 208
    .kernarg_segment_align: 8
    .kernarg_segment_size: 80
    .language:       OpenCL C
    .language_version:
      - 2
      - 0
    .max_flat_workgroup_size: 52
    .name:           _ZN9rocsparseL22gebsrmvn_mxn_16_kernelILj52ELj13ELj4EfEEvi20rocsparse_direction_NS_24const_host_device_scalarIT2_EEPKiS6_PKS3_iiS8_S4_PS3_21rocsparse_index_base_b
    .private_segment_fixed_size: 0
    .sgpr_count:     20
    .sgpr_spill_count: 0
    .symbol:         _ZN9rocsparseL22gebsrmvn_mxn_16_kernelILj52ELj13ELj4EfEEvi20rocsparse_direction_NS_24const_host_device_scalarIT2_EEPKiS6_PKS3_iiS8_S4_PS3_21rocsparse_index_base_b.kd
    .uniform_work_group_size: 1
    .uses_dynamic_stack: false
    .vgpr_count:     11
    .vgpr_spill_count: 0
    .wavefront_size: 32
    .workgroup_processor_mode: 1
  - .args:
      - .offset:         0
        .size:           4
        .value_kind:     by_value
      - .offset:         4
        .size:           4
        .value_kind:     by_value
      - .offset:         8
        .size:           8
        .value_kind:     by_value
      - .actual_access:  read_only
        .address_space:  global
        .offset:         16
        .size:           8
        .value_kind:     global_buffer
      - .actual_access:  read_only
        .address_space:  global
        .offset:         24
        .size:           8
        .value_kind:     global_buffer
      - .actual_access:  read_only
        .address_space:  global
        .offset:         32
        .size:           8
        .value_kind:     global_buffer
      - .offset:         40
        .size:           4
        .value_kind:     by_value
      - .offset:         44
        .size:           4
        .value_kind:     by_value
      - .actual_access:  read_only
        .address_space:  global
        .offset:         48
        .size:           8
        .value_kind:     global_buffer
      - .offset:         56
        .size:           8
        .value_kind:     by_value
      - .address_space:  global
        .offset:         64
        .size:           8
        .value_kind:     global_buffer
      - .offset:         72
        .size:           4
        .value_kind:     by_value
      - .offset:         76
        .size:           1
        .value_kind:     by_value
    .group_segment_fixed_size: 260
    .kernarg_segment_align: 8
    .kernarg_segment_size: 80
    .language:       OpenCL C
    .language_version:
      - 2
      - 0
    .max_flat_workgroup_size: 65
    .name:           _ZN9rocsparseL22gebsrmvn_mxn_16_kernelILj65ELj13ELj5EfEEvi20rocsparse_direction_NS_24const_host_device_scalarIT2_EEPKiS6_PKS3_iiS8_S4_PS3_21rocsparse_index_base_b
    .private_segment_fixed_size: 0
    .sgpr_count:     20
    .sgpr_spill_count: 0
    .symbol:         _ZN9rocsparseL22gebsrmvn_mxn_16_kernelILj65ELj13ELj5EfEEvi20rocsparse_direction_NS_24const_host_device_scalarIT2_EEPKiS6_PKS3_iiS8_S4_PS3_21rocsparse_index_base_b.kd
    .uniform_work_group_size: 1
    .uses_dynamic_stack: false
    .vgpr_count:     11
    .vgpr_spill_count: 0
    .wavefront_size: 32
    .workgroup_processor_mode: 1
  - .args:
      - .offset:         0
        .size:           4
        .value_kind:     by_value
      - .offset:         4
        .size:           4
        .value_kind:     by_value
      - .offset:         8
        .size:           8
        .value_kind:     by_value
      - .actual_access:  read_only
        .address_space:  global
        .offset:         16
        .size:           8
        .value_kind:     global_buffer
      - .actual_access:  read_only
        .address_space:  global
        .offset:         24
        .size:           8
        .value_kind:     global_buffer
      - .actual_access:  read_only
        .address_space:  global
        .offset:         32
        .size:           8
        .value_kind:     global_buffer
      - .offset:         40
        .size:           4
        .value_kind:     by_value
      - .offset:         44
        .size:           4
        .value_kind:     by_value
      - .actual_access:  read_only
        .address_space:  global
        .offset:         48
        .size:           8
        .value_kind:     global_buffer
      - .offset:         56
        .size:           8
        .value_kind:     by_value
      - .address_space:  global
        .offset:         64
        .size:           8
        .value_kind:     global_buffer
      - .offset:         72
        .size:           4
        .value_kind:     by_value
      - .offset:         76
        .size:           1
        .value_kind:     by_value
    .group_segment_fixed_size: 312
    .kernarg_segment_align: 8
    .kernarg_segment_size: 80
    .language:       OpenCL C
    .language_version:
      - 2
      - 0
    .max_flat_workgroup_size: 78
    .name:           _ZN9rocsparseL22gebsrmvn_mxn_16_kernelILj78ELj13ELj6EfEEvi20rocsparse_direction_NS_24const_host_device_scalarIT2_EEPKiS6_PKS3_iiS8_S4_PS3_21rocsparse_index_base_b
    .private_segment_fixed_size: 0
    .sgpr_count:     20
    .sgpr_spill_count: 0
    .symbol:         _ZN9rocsparseL22gebsrmvn_mxn_16_kernelILj78ELj13ELj6EfEEvi20rocsparse_direction_NS_24const_host_device_scalarIT2_EEPKiS6_PKS3_iiS8_S4_PS3_21rocsparse_index_base_b.kd
    .uniform_work_group_size: 1
    .uses_dynamic_stack: false
    .vgpr_count:     11
    .vgpr_spill_count: 0
    .wavefront_size: 32
    .workgroup_processor_mode: 1
  - .args:
      - .offset:         0
        .size:           4
        .value_kind:     by_value
      - .offset:         4
        .size:           4
        .value_kind:     by_value
      - .offset:         8
        .size:           8
        .value_kind:     by_value
      - .actual_access:  read_only
        .address_space:  global
        .offset:         16
        .size:           8
        .value_kind:     global_buffer
      - .actual_access:  read_only
        .address_space:  global
        .offset:         24
        .size:           8
        .value_kind:     global_buffer
      - .actual_access:  read_only
        .address_space:  global
        .offset:         32
        .size:           8
        .value_kind:     global_buffer
      - .offset:         40
        .size:           4
        .value_kind:     by_value
      - .offset:         44
        .size:           4
        .value_kind:     by_value
      - .actual_access:  read_only
        .address_space:  global
        .offset:         48
        .size:           8
        .value_kind:     global_buffer
      - .offset:         56
        .size:           8
        .value_kind:     by_value
      - .address_space:  global
        .offset:         64
        .size:           8
        .value_kind:     global_buffer
      - .offset:         72
        .size:           4
        .value_kind:     by_value
      - .offset:         76
        .size:           1
        .value_kind:     by_value
    .group_segment_fixed_size: 364
    .kernarg_segment_align: 8
    .kernarg_segment_size: 80
    .language:       OpenCL C
    .language_version:
      - 2
      - 0
    .max_flat_workgroup_size: 91
    .name:           _ZN9rocsparseL22gebsrmvn_mxn_16_kernelILj91ELj13ELj7EfEEvi20rocsparse_direction_NS_24const_host_device_scalarIT2_EEPKiS6_PKS3_iiS8_S4_PS3_21rocsparse_index_base_b
    .private_segment_fixed_size: 0
    .sgpr_count:     20
    .sgpr_spill_count: 0
    .symbol:         _ZN9rocsparseL22gebsrmvn_mxn_16_kernelILj91ELj13ELj7EfEEvi20rocsparse_direction_NS_24const_host_device_scalarIT2_EEPKiS6_PKS3_iiS8_S4_PS3_21rocsparse_index_base_b.kd
    .uniform_work_group_size: 1
    .uses_dynamic_stack: false
    .vgpr_count:     11
    .vgpr_spill_count: 0
    .wavefront_size: 32
    .workgroup_processor_mode: 1
  - .args:
      - .offset:         0
        .size:           4
        .value_kind:     by_value
      - .offset:         4
        .size:           4
        .value_kind:     by_value
      - .offset:         8
        .size:           8
        .value_kind:     by_value
      - .actual_access:  read_only
        .address_space:  global
        .offset:         16
        .size:           8
        .value_kind:     global_buffer
      - .actual_access:  read_only
        .address_space:  global
        .offset:         24
        .size:           8
        .value_kind:     global_buffer
      - .actual_access:  read_only
        .address_space:  global
        .offset:         32
        .size:           8
        .value_kind:     global_buffer
      - .offset:         40
        .size:           4
        .value_kind:     by_value
      - .offset:         44
        .size:           4
        .value_kind:     by_value
      - .actual_access:  read_only
        .address_space:  global
        .offset:         48
        .size:           8
        .value_kind:     global_buffer
      - .offset:         56
        .size:           8
        .value_kind:     by_value
      - .address_space:  global
        .offset:         64
        .size:           8
        .value_kind:     global_buffer
      - .offset:         72
        .size:           4
        .value_kind:     by_value
      - .offset:         76
        .size:           1
        .value_kind:     by_value
    .group_segment_fixed_size: 416
    .kernarg_segment_align: 8
    .kernarg_segment_size: 80
    .language:       OpenCL C
    .language_version:
      - 2
      - 0
    .max_flat_workgroup_size: 104
    .name:           _ZN9rocsparseL22gebsrmvn_mxn_16_kernelILj104ELj13ELj8EfEEvi20rocsparse_direction_NS_24const_host_device_scalarIT2_EEPKiS6_PKS3_iiS8_S4_PS3_21rocsparse_index_base_b
    .private_segment_fixed_size: 0
    .sgpr_count:     20
    .sgpr_spill_count: 0
    .symbol:         _ZN9rocsparseL22gebsrmvn_mxn_16_kernelILj104ELj13ELj8EfEEvi20rocsparse_direction_NS_24const_host_device_scalarIT2_EEPKiS6_PKS3_iiS8_S4_PS3_21rocsparse_index_base_b.kd
    .uniform_work_group_size: 1
    .uses_dynamic_stack: false
    .vgpr_count:     11
    .vgpr_spill_count: 0
    .wavefront_size: 32
    .workgroup_processor_mode: 1
  - .args:
      - .offset:         0
        .size:           4
        .value_kind:     by_value
      - .offset:         4
        .size:           4
        .value_kind:     by_value
      - .offset:         8
        .size:           8
        .value_kind:     by_value
      - .actual_access:  read_only
        .address_space:  global
        .offset:         16
        .size:           8
        .value_kind:     global_buffer
      - .actual_access:  read_only
        .address_space:  global
        .offset:         24
        .size:           8
        .value_kind:     global_buffer
      - .actual_access:  read_only
        .address_space:  global
        .offset:         32
        .size:           8
        .value_kind:     global_buffer
      - .offset:         40
        .size:           4
        .value_kind:     by_value
      - .offset:         44
        .size:           4
        .value_kind:     by_value
      - .actual_access:  read_only
        .address_space:  global
        .offset:         48
        .size:           8
        .value_kind:     global_buffer
      - .offset:         56
        .size:           8
        .value_kind:     by_value
      - .address_space:  global
        .offset:         64
        .size:           8
        .value_kind:     global_buffer
      - .offset:         72
        .size:           4
        .value_kind:     by_value
      - .offset:         76
        .size:           1
        .value_kind:     by_value
    .group_segment_fixed_size: 0
    .kernarg_segment_align: 8
    .kernarg_segment_size: 80
    .language:       OpenCL C
    .language_version:
      - 2
      - 0
    .max_flat_workgroup_size: 256
    .name:           _ZN9rocsparseL23gebsrmvn_general_kernelILj256ELj16EfEEvi20rocsparse_direction_NS_24const_host_device_scalarIT1_EEPKiS6_PKS3_iiS8_S4_PS3_21rocsparse_index_base_b
    .private_segment_fixed_size: 0
    .sgpr_count:     32
    .sgpr_spill_count: 0
    .symbol:         _ZN9rocsparseL23gebsrmvn_general_kernelILj256ELj16EfEEvi20rocsparse_direction_NS_24const_host_device_scalarIT1_EEPKiS6_PKS3_iiS8_S4_PS3_21rocsparse_index_base_b.kd
    .uniform_work_group_size: 1
    .uses_dynamic_stack: false
    .vgpr_count:     14
    .vgpr_spill_count: 0
    .wavefront_size: 32
    .workgroup_processor_mode: 1
  - .args:
      - .offset:         0
        .size:           4
        .value_kind:     by_value
      - .offset:         4
        .size:           4
        .value_kind:     by_value
      - .offset:         8
        .size:           8
        .value_kind:     by_value
      - .actual_access:  read_only
        .address_space:  global
        .offset:         16
        .size:           8
        .value_kind:     global_buffer
      - .actual_access:  read_only
        .address_space:  global
        .offset:         24
        .size:           8
        .value_kind:     global_buffer
      - .actual_access:  read_only
        .address_space:  global
        .offset:         32
        .size:           8
        .value_kind:     global_buffer
      - .offset:         40
        .size:           4
        .value_kind:     by_value
      - .offset:         44
        .size:           4
        .value_kind:     by_value
      - .actual_access:  read_only
        .address_space:  global
        .offset:         48
        .size:           8
        .value_kind:     global_buffer
      - .offset:         56
        .size:           8
        .value_kind:     by_value
      - .address_space:  global
        .offset:         64
        .size:           8
        .value_kind:     global_buffer
      - .offset:         72
        .size:           4
        .value_kind:     by_value
      - .offset:         76
        .size:           1
        .value_kind:     by_value
    .group_segment_fixed_size: 0
    .kernarg_segment_align: 8
    .kernarg_segment_size: 80
    .language:       OpenCL C
    .language_version:
      - 2
      - 0
    .max_flat_workgroup_size: 512
    .name:           _ZN9rocsparseL23gebsrmvn_general_kernelILj512ELj32EfEEvi20rocsparse_direction_NS_24const_host_device_scalarIT1_EEPKiS6_PKS3_iiS8_S4_PS3_21rocsparse_index_base_b
    .private_segment_fixed_size: 0
    .sgpr_count:     32
    .sgpr_spill_count: 0
    .symbol:         _ZN9rocsparseL23gebsrmvn_general_kernelILj512ELj32EfEEvi20rocsparse_direction_NS_24const_host_device_scalarIT1_EEPKiS6_PKS3_iiS8_S4_PS3_21rocsparse_index_base_b.kd
    .uniform_work_group_size: 1
    .uses_dynamic_stack: false
    .vgpr_count:     15
    .vgpr_spill_count: 0
    .wavefront_size: 32
    .workgroup_processor_mode: 1
  - .args:
      - .offset:         0
        .size:           4
        .value_kind:     by_value
      - .offset:         4
        .size:           4
        .value_kind:     by_value
      - .offset:         8
        .size:           8
        .value_kind:     by_value
      - .actual_access:  read_only
        .address_space:  global
        .offset:         16
        .size:           8
        .value_kind:     global_buffer
      - .actual_access:  read_only
        .address_space:  global
        .offset:         24
        .size:           8
        .value_kind:     global_buffer
      - .actual_access:  read_only
        .address_space:  global
        .offset:         32
        .size:           8
        .value_kind:     global_buffer
      - .offset:         40
        .size:           4
        .value_kind:     by_value
      - .offset:         44
        .size:           4
        .value_kind:     by_value
      - .actual_access:  read_only
        .address_space:  global
        .offset:         48
        .size:           8
        .value_kind:     global_buffer
      - .offset:         56
        .size:           8
        .value_kind:     by_value
      - .address_space:  global
        .offset:         64
        .size:           8
        .value_kind:     global_buffer
      - .offset:         72
        .size:           4
        .value_kind:     by_value
      - .offset:         76
        .size:           1
        .value_kind:     by_value
    .group_segment_fixed_size: 224
    .kernarg_segment_align: 8
    .kernarg_segment_size: 80
    .language:       OpenCL C
    .language_version:
      - 2
      - 0
    .max_flat_workgroup_size: 56
    .name:           _ZN9rocsparseL22gebsrmvn_mxn_16_kernelILj56ELj14ELj1EfEEvi20rocsparse_direction_NS_24const_host_device_scalarIT2_EEPKiS6_PKS3_iiS8_S4_PS3_21rocsparse_index_base_b
    .private_segment_fixed_size: 0
    .sgpr_count:     20
    .sgpr_spill_count: 0
    .symbol:         _ZN9rocsparseL22gebsrmvn_mxn_16_kernelILj56ELj14ELj1EfEEvi20rocsparse_direction_NS_24const_host_device_scalarIT2_EEPKiS6_PKS3_iiS8_S4_PS3_21rocsparse_index_base_b.kd
    .uniform_work_group_size: 1
    .uses_dynamic_stack: false
    .vgpr_count:     9
    .vgpr_spill_count: 0
    .wavefront_size: 32
    .workgroup_processor_mode: 1
  - .args:
      - .offset:         0
        .size:           4
        .value_kind:     by_value
      - .offset:         4
        .size:           4
        .value_kind:     by_value
      - .offset:         8
        .size:           8
        .value_kind:     by_value
      - .actual_access:  read_only
        .address_space:  global
        .offset:         16
        .size:           8
        .value_kind:     global_buffer
      - .actual_access:  read_only
        .address_space:  global
        .offset:         24
        .size:           8
        .value_kind:     global_buffer
      - .actual_access:  read_only
        .address_space:  global
        .offset:         32
        .size:           8
        .value_kind:     global_buffer
      - .offset:         40
        .size:           4
        .value_kind:     by_value
      - .offset:         44
        .size:           4
        .value_kind:     by_value
      - .actual_access:  read_only
        .address_space:  global
        .offset:         48
        .size:           8
        .value_kind:     global_buffer
      - .offset:         56
        .size:           8
        .value_kind:     by_value
      - .address_space:  global
        .offset:         64
        .size:           8
        .value_kind:     global_buffer
      - .offset:         72
        .size:           4
        .value_kind:     by_value
      - .offset:         76
        .size:           1
        .value_kind:     by_value
    .group_segment_fixed_size: 224
    .kernarg_segment_align: 8
    .kernarg_segment_size: 80
    .language:       OpenCL C
    .language_version:
      - 2
      - 0
    .max_flat_workgroup_size: 56
    .name:           _ZN9rocsparseL22gebsrmvn_mxn_16_kernelILj56ELj14ELj2EfEEvi20rocsparse_direction_NS_24const_host_device_scalarIT2_EEPKiS6_PKS3_iiS8_S4_PS3_21rocsparse_index_base_b
    .private_segment_fixed_size: 0
    .sgpr_count:     20
    .sgpr_spill_count: 0
    .symbol:         _ZN9rocsparseL22gebsrmvn_mxn_16_kernelILj56ELj14ELj2EfEEvi20rocsparse_direction_NS_24const_host_device_scalarIT2_EEPKiS6_PKS3_iiS8_S4_PS3_21rocsparse_index_base_b.kd
    .uniform_work_group_size: 1
    .uses_dynamic_stack: false
    .vgpr_count:     11
    .vgpr_spill_count: 0
    .wavefront_size: 32
    .workgroup_processor_mode: 1
  - .args:
      - .offset:         0
        .size:           4
        .value_kind:     by_value
      - .offset:         4
        .size:           4
        .value_kind:     by_value
      - .offset:         8
        .size:           8
        .value_kind:     by_value
      - .actual_access:  read_only
        .address_space:  global
        .offset:         16
        .size:           8
        .value_kind:     global_buffer
      - .actual_access:  read_only
        .address_space:  global
        .offset:         24
        .size:           8
        .value_kind:     global_buffer
      - .actual_access:  read_only
        .address_space:  global
        .offset:         32
        .size:           8
        .value_kind:     global_buffer
      - .offset:         40
        .size:           4
        .value_kind:     by_value
      - .offset:         44
        .size:           4
        .value_kind:     by_value
      - .actual_access:  read_only
        .address_space:  global
        .offset:         48
        .size:           8
        .value_kind:     global_buffer
      - .offset:         56
        .size:           8
        .value_kind:     by_value
      - .address_space:  global
        .offset:         64
        .size:           8
        .value_kind:     global_buffer
      - .offset:         72
        .size:           4
        .value_kind:     by_value
      - .offset:         76
        .size:           1
        .value_kind:     by_value
    .group_segment_fixed_size: 168
    .kernarg_segment_align: 8
    .kernarg_segment_size: 80
    .language:       OpenCL C
    .language_version:
      - 2
      - 0
    .max_flat_workgroup_size: 42
    .name:           _ZN9rocsparseL22gebsrmvn_mxn_16_kernelILj42ELj14ELj3EfEEvi20rocsparse_direction_NS_24const_host_device_scalarIT2_EEPKiS6_PKS3_iiS8_S4_PS3_21rocsparse_index_base_b
    .private_segment_fixed_size: 0
    .sgpr_count:     20
    .sgpr_spill_count: 0
    .symbol:         _ZN9rocsparseL22gebsrmvn_mxn_16_kernelILj42ELj14ELj3EfEEvi20rocsparse_direction_NS_24const_host_device_scalarIT2_EEPKiS6_PKS3_iiS8_S4_PS3_21rocsparse_index_base_b.kd
    .uniform_work_group_size: 1
    .uses_dynamic_stack: false
    .vgpr_count:     11
    .vgpr_spill_count: 0
    .wavefront_size: 32
    .workgroup_processor_mode: 1
  - .args:
      - .offset:         0
        .size:           4
        .value_kind:     by_value
      - .offset:         4
        .size:           4
        .value_kind:     by_value
      - .offset:         8
        .size:           8
        .value_kind:     by_value
      - .actual_access:  read_only
        .address_space:  global
        .offset:         16
        .size:           8
        .value_kind:     global_buffer
      - .actual_access:  read_only
        .address_space:  global
        .offset:         24
        .size:           8
        .value_kind:     global_buffer
      - .actual_access:  read_only
        .address_space:  global
        .offset:         32
        .size:           8
        .value_kind:     global_buffer
      - .offset:         40
        .size:           4
        .value_kind:     by_value
      - .offset:         44
        .size:           4
        .value_kind:     by_value
      - .actual_access:  read_only
        .address_space:  global
        .offset:         48
        .size:           8
        .value_kind:     global_buffer
      - .offset:         56
        .size:           8
        .value_kind:     by_value
      - .address_space:  global
        .offset:         64
        .size:           8
        .value_kind:     global_buffer
      - .offset:         72
        .size:           4
        .value_kind:     by_value
      - .offset:         76
        .size:           1
        .value_kind:     by_value
    .group_segment_fixed_size: 224
    .kernarg_segment_align: 8
    .kernarg_segment_size: 80
    .language:       OpenCL C
    .language_version:
      - 2
      - 0
    .max_flat_workgroup_size: 56
    .name:           _ZN9rocsparseL22gebsrmvn_mxn_16_kernelILj56ELj14ELj4EfEEvi20rocsparse_direction_NS_24const_host_device_scalarIT2_EEPKiS6_PKS3_iiS8_S4_PS3_21rocsparse_index_base_b
    .private_segment_fixed_size: 0
    .sgpr_count:     20
    .sgpr_spill_count: 0
    .symbol:         _ZN9rocsparseL22gebsrmvn_mxn_16_kernelILj56ELj14ELj4EfEEvi20rocsparse_direction_NS_24const_host_device_scalarIT2_EEPKiS6_PKS3_iiS8_S4_PS3_21rocsparse_index_base_b.kd
    .uniform_work_group_size: 1
    .uses_dynamic_stack: false
    .vgpr_count:     11
    .vgpr_spill_count: 0
    .wavefront_size: 32
    .workgroup_processor_mode: 1
  - .args:
      - .offset:         0
        .size:           4
        .value_kind:     by_value
      - .offset:         4
        .size:           4
        .value_kind:     by_value
      - .offset:         8
        .size:           8
        .value_kind:     by_value
      - .actual_access:  read_only
        .address_space:  global
        .offset:         16
        .size:           8
        .value_kind:     global_buffer
      - .actual_access:  read_only
        .address_space:  global
        .offset:         24
        .size:           8
        .value_kind:     global_buffer
      - .actual_access:  read_only
        .address_space:  global
        .offset:         32
        .size:           8
        .value_kind:     global_buffer
      - .offset:         40
        .size:           4
        .value_kind:     by_value
      - .offset:         44
        .size:           4
        .value_kind:     by_value
      - .actual_access:  read_only
        .address_space:  global
        .offset:         48
        .size:           8
        .value_kind:     global_buffer
      - .offset:         56
        .size:           8
        .value_kind:     by_value
      - .address_space:  global
        .offset:         64
        .size:           8
        .value_kind:     global_buffer
      - .offset:         72
        .size:           4
        .value_kind:     by_value
      - .offset:         76
        .size:           1
        .value_kind:     by_value
    .group_segment_fixed_size: 280
    .kernarg_segment_align: 8
    .kernarg_segment_size: 80
    .language:       OpenCL C
    .language_version:
      - 2
      - 0
    .max_flat_workgroup_size: 70
    .name:           _ZN9rocsparseL22gebsrmvn_mxn_16_kernelILj70ELj14ELj5EfEEvi20rocsparse_direction_NS_24const_host_device_scalarIT2_EEPKiS6_PKS3_iiS8_S4_PS3_21rocsparse_index_base_b
    .private_segment_fixed_size: 0
    .sgpr_count:     20
    .sgpr_spill_count: 0
    .symbol:         _ZN9rocsparseL22gebsrmvn_mxn_16_kernelILj70ELj14ELj5EfEEvi20rocsparse_direction_NS_24const_host_device_scalarIT2_EEPKiS6_PKS3_iiS8_S4_PS3_21rocsparse_index_base_b.kd
    .uniform_work_group_size: 1
    .uses_dynamic_stack: false
    .vgpr_count:     11
    .vgpr_spill_count: 0
    .wavefront_size: 32
    .workgroup_processor_mode: 1
  - .args:
      - .offset:         0
        .size:           4
        .value_kind:     by_value
      - .offset:         4
        .size:           4
        .value_kind:     by_value
      - .offset:         8
        .size:           8
        .value_kind:     by_value
      - .actual_access:  read_only
        .address_space:  global
        .offset:         16
        .size:           8
        .value_kind:     global_buffer
      - .actual_access:  read_only
        .address_space:  global
        .offset:         24
        .size:           8
        .value_kind:     global_buffer
      - .actual_access:  read_only
        .address_space:  global
        .offset:         32
        .size:           8
        .value_kind:     global_buffer
      - .offset:         40
        .size:           4
        .value_kind:     by_value
      - .offset:         44
        .size:           4
        .value_kind:     by_value
      - .actual_access:  read_only
        .address_space:  global
        .offset:         48
        .size:           8
        .value_kind:     global_buffer
      - .offset:         56
        .size:           8
        .value_kind:     by_value
      - .address_space:  global
        .offset:         64
        .size:           8
        .value_kind:     global_buffer
      - .offset:         72
        .size:           4
        .value_kind:     by_value
      - .offset:         76
        .size:           1
        .value_kind:     by_value
    .group_segment_fixed_size: 336
    .kernarg_segment_align: 8
    .kernarg_segment_size: 80
    .language:       OpenCL C
    .language_version:
      - 2
      - 0
    .max_flat_workgroup_size: 84
    .name:           _ZN9rocsparseL22gebsrmvn_mxn_16_kernelILj84ELj14ELj6EfEEvi20rocsparse_direction_NS_24const_host_device_scalarIT2_EEPKiS6_PKS3_iiS8_S4_PS3_21rocsparse_index_base_b
    .private_segment_fixed_size: 0
    .sgpr_count:     20
    .sgpr_spill_count: 0
    .symbol:         _ZN9rocsparseL22gebsrmvn_mxn_16_kernelILj84ELj14ELj6EfEEvi20rocsparse_direction_NS_24const_host_device_scalarIT2_EEPKiS6_PKS3_iiS8_S4_PS3_21rocsparse_index_base_b.kd
    .uniform_work_group_size: 1
    .uses_dynamic_stack: false
    .vgpr_count:     11
    .vgpr_spill_count: 0
    .wavefront_size: 32
    .workgroup_processor_mode: 1
  - .args:
      - .offset:         0
        .size:           4
        .value_kind:     by_value
      - .offset:         4
        .size:           4
        .value_kind:     by_value
      - .offset:         8
        .size:           8
        .value_kind:     by_value
      - .actual_access:  read_only
        .address_space:  global
        .offset:         16
        .size:           8
        .value_kind:     global_buffer
      - .actual_access:  read_only
        .address_space:  global
        .offset:         24
        .size:           8
        .value_kind:     global_buffer
      - .actual_access:  read_only
        .address_space:  global
        .offset:         32
        .size:           8
        .value_kind:     global_buffer
      - .offset:         40
        .size:           4
        .value_kind:     by_value
      - .offset:         44
        .size:           4
        .value_kind:     by_value
      - .actual_access:  read_only
        .address_space:  global
        .offset:         48
        .size:           8
        .value_kind:     global_buffer
      - .offset:         56
        .size:           8
        .value_kind:     by_value
      - .address_space:  global
        .offset:         64
        .size:           8
        .value_kind:     global_buffer
      - .offset:         72
        .size:           4
        .value_kind:     by_value
      - .offset:         76
        .size:           1
        .value_kind:     by_value
    .group_segment_fixed_size: 392
    .kernarg_segment_align: 8
    .kernarg_segment_size: 80
    .language:       OpenCL C
    .language_version:
      - 2
      - 0
    .max_flat_workgroup_size: 98
    .name:           _ZN9rocsparseL22gebsrmvn_mxn_16_kernelILj98ELj14ELj7EfEEvi20rocsparse_direction_NS_24const_host_device_scalarIT2_EEPKiS6_PKS3_iiS8_S4_PS3_21rocsparse_index_base_b
    .private_segment_fixed_size: 0
    .sgpr_count:     20
    .sgpr_spill_count: 0
    .symbol:         _ZN9rocsparseL22gebsrmvn_mxn_16_kernelILj98ELj14ELj7EfEEvi20rocsparse_direction_NS_24const_host_device_scalarIT2_EEPKiS6_PKS3_iiS8_S4_PS3_21rocsparse_index_base_b.kd
    .uniform_work_group_size: 1
    .uses_dynamic_stack: false
    .vgpr_count:     11
    .vgpr_spill_count: 0
    .wavefront_size: 32
    .workgroup_processor_mode: 1
  - .args:
      - .offset:         0
        .size:           4
        .value_kind:     by_value
      - .offset:         4
        .size:           4
        .value_kind:     by_value
      - .offset:         8
        .size:           8
        .value_kind:     by_value
      - .actual_access:  read_only
        .address_space:  global
        .offset:         16
        .size:           8
        .value_kind:     global_buffer
      - .actual_access:  read_only
        .address_space:  global
        .offset:         24
        .size:           8
        .value_kind:     global_buffer
      - .actual_access:  read_only
        .address_space:  global
        .offset:         32
        .size:           8
        .value_kind:     global_buffer
      - .offset:         40
        .size:           4
        .value_kind:     by_value
      - .offset:         44
        .size:           4
        .value_kind:     by_value
      - .actual_access:  read_only
        .address_space:  global
        .offset:         48
        .size:           8
        .value_kind:     global_buffer
      - .offset:         56
        .size:           8
        .value_kind:     by_value
      - .address_space:  global
        .offset:         64
        .size:           8
        .value_kind:     global_buffer
      - .offset:         72
        .size:           4
        .value_kind:     by_value
      - .offset:         76
        .size:           1
        .value_kind:     by_value
    .group_segment_fixed_size: 448
    .kernarg_segment_align: 8
    .kernarg_segment_size: 80
    .language:       OpenCL C
    .language_version:
      - 2
      - 0
    .max_flat_workgroup_size: 112
    .name:           _ZN9rocsparseL22gebsrmvn_mxn_16_kernelILj112ELj14ELj8EfEEvi20rocsparse_direction_NS_24const_host_device_scalarIT2_EEPKiS6_PKS3_iiS8_S4_PS3_21rocsparse_index_base_b
    .private_segment_fixed_size: 0
    .sgpr_count:     20
    .sgpr_spill_count: 0
    .symbol:         _ZN9rocsparseL22gebsrmvn_mxn_16_kernelILj112ELj14ELj8EfEEvi20rocsparse_direction_NS_24const_host_device_scalarIT2_EEPKiS6_PKS3_iiS8_S4_PS3_21rocsparse_index_base_b.kd
    .uniform_work_group_size: 1
    .uses_dynamic_stack: false
    .vgpr_count:     11
    .vgpr_spill_count: 0
    .wavefront_size: 32
    .workgroup_processor_mode: 1
  - .args:
      - .offset:         0
        .size:           4
        .value_kind:     by_value
      - .offset:         4
        .size:           4
        .value_kind:     by_value
      - .offset:         8
        .size:           8
        .value_kind:     by_value
      - .actual_access:  read_only
        .address_space:  global
        .offset:         16
        .size:           8
        .value_kind:     global_buffer
      - .actual_access:  read_only
        .address_space:  global
        .offset:         24
        .size:           8
        .value_kind:     global_buffer
      - .actual_access:  read_only
        .address_space:  global
        .offset:         32
        .size:           8
        .value_kind:     global_buffer
      - .offset:         40
        .size:           4
        .value_kind:     by_value
      - .offset:         44
        .size:           4
        .value_kind:     by_value
      - .actual_access:  read_only
        .address_space:  global
        .offset:         48
        .size:           8
        .value_kind:     global_buffer
      - .offset:         56
        .size:           8
        .value_kind:     by_value
      - .address_space:  global
        .offset:         64
        .size:           8
        .value_kind:     global_buffer
      - .offset:         72
        .size:           4
        .value_kind:     by_value
      - .offset:         76
        .size:           1
        .value_kind:     by_value
    .group_segment_fixed_size: 240
    .kernarg_segment_align: 8
    .kernarg_segment_size: 80
    .language:       OpenCL C
    .language_version:
      - 2
      - 0
    .max_flat_workgroup_size: 60
    .name:           _ZN9rocsparseL22gebsrmvn_mxn_16_kernelILj60ELj15ELj1EfEEvi20rocsparse_direction_NS_24const_host_device_scalarIT2_EEPKiS6_PKS3_iiS8_S4_PS3_21rocsparse_index_base_b
    .private_segment_fixed_size: 0
    .sgpr_count:     20
    .sgpr_spill_count: 0
    .symbol:         _ZN9rocsparseL22gebsrmvn_mxn_16_kernelILj60ELj15ELj1EfEEvi20rocsparse_direction_NS_24const_host_device_scalarIT2_EEPKiS6_PKS3_iiS8_S4_PS3_21rocsparse_index_base_b.kd
    .uniform_work_group_size: 1
    .uses_dynamic_stack: false
    .vgpr_count:     9
    .vgpr_spill_count: 0
    .wavefront_size: 32
    .workgroup_processor_mode: 1
  - .args:
      - .offset:         0
        .size:           4
        .value_kind:     by_value
      - .offset:         4
        .size:           4
        .value_kind:     by_value
      - .offset:         8
        .size:           8
        .value_kind:     by_value
      - .actual_access:  read_only
        .address_space:  global
        .offset:         16
        .size:           8
        .value_kind:     global_buffer
      - .actual_access:  read_only
        .address_space:  global
        .offset:         24
        .size:           8
        .value_kind:     global_buffer
      - .actual_access:  read_only
        .address_space:  global
        .offset:         32
        .size:           8
        .value_kind:     global_buffer
      - .offset:         40
        .size:           4
        .value_kind:     by_value
      - .offset:         44
        .size:           4
        .value_kind:     by_value
      - .actual_access:  read_only
        .address_space:  global
        .offset:         48
        .size:           8
        .value_kind:     global_buffer
      - .offset:         56
        .size:           8
        .value_kind:     by_value
      - .address_space:  global
        .offset:         64
        .size:           8
        .value_kind:     global_buffer
      - .offset:         72
        .size:           4
        .value_kind:     by_value
      - .offset:         76
        .size:           1
        .value_kind:     by_value
    .group_segment_fixed_size: 240
    .kernarg_segment_align: 8
    .kernarg_segment_size: 80
    .language:       OpenCL C
    .language_version:
      - 2
      - 0
    .max_flat_workgroup_size: 60
    .name:           _ZN9rocsparseL22gebsrmvn_mxn_16_kernelILj60ELj15ELj2EfEEvi20rocsparse_direction_NS_24const_host_device_scalarIT2_EEPKiS6_PKS3_iiS8_S4_PS3_21rocsparse_index_base_b
    .private_segment_fixed_size: 0
    .sgpr_count:     20
    .sgpr_spill_count: 0
    .symbol:         _ZN9rocsparseL22gebsrmvn_mxn_16_kernelILj60ELj15ELj2EfEEvi20rocsparse_direction_NS_24const_host_device_scalarIT2_EEPKiS6_PKS3_iiS8_S4_PS3_21rocsparse_index_base_b.kd
    .uniform_work_group_size: 1
    .uses_dynamic_stack: false
    .vgpr_count:     11
    .vgpr_spill_count: 0
    .wavefront_size: 32
    .workgroup_processor_mode: 1
  - .args:
      - .offset:         0
        .size:           4
        .value_kind:     by_value
      - .offset:         4
        .size:           4
        .value_kind:     by_value
      - .offset:         8
        .size:           8
        .value_kind:     by_value
      - .actual_access:  read_only
        .address_space:  global
        .offset:         16
        .size:           8
        .value_kind:     global_buffer
      - .actual_access:  read_only
        .address_space:  global
        .offset:         24
        .size:           8
        .value_kind:     global_buffer
      - .actual_access:  read_only
        .address_space:  global
        .offset:         32
        .size:           8
        .value_kind:     global_buffer
      - .offset:         40
        .size:           4
        .value_kind:     by_value
      - .offset:         44
        .size:           4
        .value_kind:     by_value
      - .actual_access:  read_only
        .address_space:  global
        .offset:         48
        .size:           8
        .value_kind:     global_buffer
      - .offset:         56
        .size:           8
        .value_kind:     by_value
      - .address_space:  global
        .offset:         64
        .size:           8
        .value_kind:     global_buffer
      - .offset:         72
        .size:           4
        .value_kind:     by_value
      - .offset:         76
        .size:           1
        .value_kind:     by_value
    .group_segment_fixed_size: 180
    .kernarg_segment_align: 8
    .kernarg_segment_size: 80
    .language:       OpenCL C
    .language_version:
      - 2
      - 0
    .max_flat_workgroup_size: 45
    .name:           _ZN9rocsparseL22gebsrmvn_mxn_16_kernelILj45ELj15ELj3EfEEvi20rocsparse_direction_NS_24const_host_device_scalarIT2_EEPKiS6_PKS3_iiS8_S4_PS3_21rocsparse_index_base_b
    .private_segment_fixed_size: 0
    .sgpr_count:     20
    .sgpr_spill_count: 0
    .symbol:         _ZN9rocsparseL22gebsrmvn_mxn_16_kernelILj45ELj15ELj3EfEEvi20rocsparse_direction_NS_24const_host_device_scalarIT2_EEPKiS6_PKS3_iiS8_S4_PS3_21rocsparse_index_base_b.kd
    .uniform_work_group_size: 1
    .uses_dynamic_stack: false
    .vgpr_count:     11
    .vgpr_spill_count: 0
    .wavefront_size: 32
    .workgroup_processor_mode: 1
  - .args:
      - .offset:         0
        .size:           4
        .value_kind:     by_value
      - .offset:         4
        .size:           4
        .value_kind:     by_value
      - .offset:         8
        .size:           8
        .value_kind:     by_value
      - .actual_access:  read_only
        .address_space:  global
        .offset:         16
        .size:           8
        .value_kind:     global_buffer
      - .actual_access:  read_only
        .address_space:  global
        .offset:         24
        .size:           8
        .value_kind:     global_buffer
      - .actual_access:  read_only
        .address_space:  global
        .offset:         32
        .size:           8
        .value_kind:     global_buffer
      - .offset:         40
        .size:           4
        .value_kind:     by_value
      - .offset:         44
        .size:           4
        .value_kind:     by_value
      - .actual_access:  read_only
        .address_space:  global
        .offset:         48
        .size:           8
        .value_kind:     global_buffer
      - .offset:         56
        .size:           8
        .value_kind:     by_value
      - .address_space:  global
        .offset:         64
        .size:           8
        .value_kind:     global_buffer
      - .offset:         72
        .size:           4
        .value_kind:     by_value
      - .offset:         76
        .size:           1
        .value_kind:     by_value
    .group_segment_fixed_size: 240
    .kernarg_segment_align: 8
    .kernarg_segment_size: 80
    .language:       OpenCL C
    .language_version:
      - 2
      - 0
    .max_flat_workgroup_size: 60
    .name:           _ZN9rocsparseL22gebsrmvn_mxn_16_kernelILj60ELj15ELj4EfEEvi20rocsparse_direction_NS_24const_host_device_scalarIT2_EEPKiS6_PKS3_iiS8_S4_PS3_21rocsparse_index_base_b
    .private_segment_fixed_size: 0
    .sgpr_count:     20
    .sgpr_spill_count: 0
    .symbol:         _ZN9rocsparseL22gebsrmvn_mxn_16_kernelILj60ELj15ELj4EfEEvi20rocsparse_direction_NS_24const_host_device_scalarIT2_EEPKiS6_PKS3_iiS8_S4_PS3_21rocsparse_index_base_b.kd
    .uniform_work_group_size: 1
    .uses_dynamic_stack: false
    .vgpr_count:     11
    .vgpr_spill_count: 0
    .wavefront_size: 32
    .workgroup_processor_mode: 1
  - .args:
      - .offset:         0
        .size:           4
        .value_kind:     by_value
      - .offset:         4
        .size:           4
        .value_kind:     by_value
      - .offset:         8
        .size:           8
        .value_kind:     by_value
      - .actual_access:  read_only
        .address_space:  global
        .offset:         16
        .size:           8
        .value_kind:     global_buffer
      - .actual_access:  read_only
        .address_space:  global
        .offset:         24
        .size:           8
        .value_kind:     global_buffer
      - .actual_access:  read_only
        .address_space:  global
        .offset:         32
        .size:           8
        .value_kind:     global_buffer
      - .offset:         40
        .size:           4
        .value_kind:     by_value
      - .offset:         44
        .size:           4
        .value_kind:     by_value
      - .actual_access:  read_only
        .address_space:  global
        .offset:         48
        .size:           8
        .value_kind:     global_buffer
      - .offset:         56
        .size:           8
        .value_kind:     by_value
      - .address_space:  global
        .offset:         64
        .size:           8
        .value_kind:     global_buffer
      - .offset:         72
        .size:           4
        .value_kind:     by_value
      - .offset:         76
        .size:           1
        .value_kind:     by_value
    .group_segment_fixed_size: 300
    .kernarg_segment_align: 8
    .kernarg_segment_size: 80
    .language:       OpenCL C
    .language_version:
      - 2
      - 0
    .max_flat_workgroup_size: 75
    .name:           _ZN9rocsparseL22gebsrmvn_mxn_16_kernelILj75ELj15ELj5EfEEvi20rocsparse_direction_NS_24const_host_device_scalarIT2_EEPKiS6_PKS3_iiS8_S4_PS3_21rocsparse_index_base_b
    .private_segment_fixed_size: 0
    .sgpr_count:     20
    .sgpr_spill_count: 0
    .symbol:         _ZN9rocsparseL22gebsrmvn_mxn_16_kernelILj75ELj15ELj5EfEEvi20rocsparse_direction_NS_24const_host_device_scalarIT2_EEPKiS6_PKS3_iiS8_S4_PS3_21rocsparse_index_base_b.kd
    .uniform_work_group_size: 1
    .uses_dynamic_stack: false
    .vgpr_count:     11
    .vgpr_spill_count: 0
    .wavefront_size: 32
    .workgroup_processor_mode: 1
  - .args:
      - .offset:         0
        .size:           4
        .value_kind:     by_value
      - .offset:         4
        .size:           4
        .value_kind:     by_value
      - .offset:         8
        .size:           8
        .value_kind:     by_value
      - .actual_access:  read_only
        .address_space:  global
        .offset:         16
        .size:           8
        .value_kind:     global_buffer
      - .actual_access:  read_only
        .address_space:  global
        .offset:         24
        .size:           8
        .value_kind:     global_buffer
      - .actual_access:  read_only
        .address_space:  global
        .offset:         32
        .size:           8
        .value_kind:     global_buffer
      - .offset:         40
        .size:           4
        .value_kind:     by_value
      - .offset:         44
        .size:           4
        .value_kind:     by_value
      - .actual_access:  read_only
        .address_space:  global
        .offset:         48
        .size:           8
        .value_kind:     global_buffer
      - .offset:         56
        .size:           8
        .value_kind:     by_value
      - .address_space:  global
        .offset:         64
        .size:           8
        .value_kind:     global_buffer
      - .offset:         72
        .size:           4
        .value_kind:     by_value
      - .offset:         76
        .size:           1
        .value_kind:     by_value
    .group_segment_fixed_size: 360
    .kernarg_segment_align: 8
    .kernarg_segment_size: 80
    .language:       OpenCL C
    .language_version:
      - 2
      - 0
    .max_flat_workgroup_size: 90
    .name:           _ZN9rocsparseL22gebsrmvn_mxn_16_kernelILj90ELj15ELj6EfEEvi20rocsparse_direction_NS_24const_host_device_scalarIT2_EEPKiS6_PKS3_iiS8_S4_PS3_21rocsparse_index_base_b
    .private_segment_fixed_size: 0
    .sgpr_count:     20
    .sgpr_spill_count: 0
    .symbol:         _ZN9rocsparseL22gebsrmvn_mxn_16_kernelILj90ELj15ELj6EfEEvi20rocsparse_direction_NS_24const_host_device_scalarIT2_EEPKiS6_PKS3_iiS8_S4_PS3_21rocsparse_index_base_b.kd
    .uniform_work_group_size: 1
    .uses_dynamic_stack: false
    .vgpr_count:     11
    .vgpr_spill_count: 0
    .wavefront_size: 32
    .workgroup_processor_mode: 1
  - .args:
      - .offset:         0
        .size:           4
        .value_kind:     by_value
      - .offset:         4
        .size:           4
        .value_kind:     by_value
      - .offset:         8
        .size:           8
        .value_kind:     by_value
      - .actual_access:  read_only
        .address_space:  global
        .offset:         16
        .size:           8
        .value_kind:     global_buffer
      - .actual_access:  read_only
        .address_space:  global
        .offset:         24
        .size:           8
        .value_kind:     global_buffer
      - .actual_access:  read_only
        .address_space:  global
        .offset:         32
        .size:           8
        .value_kind:     global_buffer
      - .offset:         40
        .size:           4
        .value_kind:     by_value
      - .offset:         44
        .size:           4
        .value_kind:     by_value
      - .actual_access:  read_only
        .address_space:  global
        .offset:         48
        .size:           8
        .value_kind:     global_buffer
      - .offset:         56
        .size:           8
        .value_kind:     by_value
      - .address_space:  global
        .offset:         64
        .size:           8
        .value_kind:     global_buffer
      - .offset:         72
        .size:           4
        .value_kind:     by_value
      - .offset:         76
        .size:           1
        .value_kind:     by_value
    .group_segment_fixed_size: 420
    .kernarg_segment_align: 8
    .kernarg_segment_size: 80
    .language:       OpenCL C
    .language_version:
      - 2
      - 0
    .max_flat_workgroup_size: 105
    .name:           _ZN9rocsparseL22gebsrmvn_mxn_16_kernelILj105ELj15ELj7EfEEvi20rocsparse_direction_NS_24const_host_device_scalarIT2_EEPKiS6_PKS3_iiS8_S4_PS3_21rocsparse_index_base_b
    .private_segment_fixed_size: 0
    .sgpr_count:     20
    .sgpr_spill_count: 0
    .symbol:         _ZN9rocsparseL22gebsrmvn_mxn_16_kernelILj105ELj15ELj7EfEEvi20rocsparse_direction_NS_24const_host_device_scalarIT2_EEPKiS6_PKS3_iiS8_S4_PS3_21rocsparse_index_base_b.kd
    .uniform_work_group_size: 1
    .uses_dynamic_stack: false
    .vgpr_count:     11
    .vgpr_spill_count: 0
    .wavefront_size: 32
    .workgroup_processor_mode: 1
  - .args:
      - .offset:         0
        .size:           4
        .value_kind:     by_value
      - .offset:         4
        .size:           4
        .value_kind:     by_value
      - .offset:         8
        .size:           8
        .value_kind:     by_value
      - .actual_access:  read_only
        .address_space:  global
        .offset:         16
        .size:           8
        .value_kind:     global_buffer
      - .actual_access:  read_only
        .address_space:  global
        .offset:         24
        .size:           8
        .value_kind:     global_buffer
      - .actual_access:  read_only
        .address_space:  global
        .offset:         32
        .size:           8
        .value_kind:     global_buffer
      - .offset:         40
        .size:           4
        .value_kind:     by_value
      - .offset:         44
        .size:           4
        .value_kind:     by_value
      - .actual_access:  read_only
        .address_space:  global
        .offset:         48
        .size:           8
        .value_kind:     global_buffer
      - .offset:         56
        .size:           8
        .value_kind:     by_value
      - .address_space:  global
        .offset:         64
        .size:           8
        .value_kind:     global_buffer
      - .offset:         72
        .size:           4
        .value_kind:     by_value
      - .offset:         76
        .size:           1
        .value_kind:     by_value
    .group_segment_fixed_size: 480
    .kernarg_segment_align: 8
    .kernarg_segment_size: 80
    .language:       OpenCL C
    .language_version:
      - 2
      - 0
    .max_flat_workgroup_size: 120
    .name:           _ZN9rocsparseL22gebsrmvn_mxn_16_kernelILj120ELj15ELj8EfEEvi20rocsparse_direction_NS_24const_host_device_scalarIT2_EEPKiS6_PKS3_iiS8_S4_PS3_21rocsparse_index_base_b
    .private_segment_fixed_size: 0
    .sgpr_count:     20
    .sgpr_spill_count: 0
    .symbol:         _ZN9rocsparseL22gebsrmvn_mxn_16_kernelILj120ELj15ELj8EfEEvi20rocsparse_direction_NS_24const_host_device_scalarIT2_EEPKiS6_PKS3_iiS8_S4_PS3_21rocsparse_index_base_b.kd
    .uniform_work_group_size: 1
    .uses_dynamic_stack: false
    .vgpr_count:     11
    .vgpr_spill_count: 0
    .wavefront_size: 32
    .workgroup_processor_mode: 1
  - .args:
      - .offset:         0
        .size:           4
        .value_kind:     by_value
      - .offset:         4
        .size:           4
        .value_kind:     by_value
      - .offset:         8
        .size:           8
        .value_kind:     by_value
      - .actual_access:  read_only
        .address_space:  global
        .offset:         16
        .size:           8
        .value_kind:     global_buffer
      - .actual_access:  read_only
        .address_space:  global
        .offset:         24
        .size:           8
        .value_kind:     global_buffer
      - .actual_access:  read_only
        .address_space:  global
        .offset:         32
        .size:           8
        .value_kind:     global_buffer
      - .offset:         40
        .size:           4
        .value_kind:     by_value
      - .offset:         44
        .size:           4
        .value_kind:     by_value
      - .actual_access:  read_only
        .address_space:  global
        .offset:         48
        .size:           8
        .value_kind:     global_buffer
      - .offset:         56
        .size:           8
        .value_kind:     by_value
      - .address_space:  global
        .offset:         64
        .size:           8
        .value_kind:     global_buffer
      - .offset:         72
        .size:           4
        .value_kind:     by_value
      - .offset:         76
        .size:           1
        .value_kind:     by_value
    .group_segment_fixed_size: 256
    .kernarg_segment_align: 8
    .kernarg_segment_size: 80
    .language:       OpenCL C
    .language_version:
      - 2
      - 0
    .max_flat_workgroup_size: 64
    .name:           _ZN9rocsparseL22gebsrmvn_mxn_16_kernelILj64ELj16ELj1EfEEvi20rocsparse_direction_NS_24const_host_device_scalarIT2_EEPKiS6_PKS3_iiS8_S4_PS3_21rocsparse_index_base_b
    .private_segment_fixed_size: 0
    .sgpr_count:     20
    .sgpr_spill_count: 0
    .symbol:         _ZN9rocsparseL22gebsrmvn_mxn_16_kernelILj64ELj16ELj1EfEEvi20rocsparse_direction_NS_24const_host_device_scalarIT2_EEPKiS6_PKS3_iiS8_S4_PS3_21rocsparse_index_base_b.kd
    .uniform_work_group_size: 1
    .uses_dynamic_stack: false
    .vgpr_count:     9
    .vgpr_spill_count: 0
    .wavefront_size: 32
    .workgroup_processor_mode: 1
  - .args:
      - .offset:         0
        .size:           4
        .value_kind:     by_value
      - .offset:         4
        .size:           4
        .value_kind:     by_value
      - .offset:         8
        .size:           8
        .value_kind:     by_value
      - .actual_access:  read_only
        .address_space:  global
        .offset:         16
        .size:           8
        .value_kind:     global_buffer
      - .actual_access:  read_only
        .address_space:  global
        .offset:         24
        .size:           8
        .value_kind:     global_buffer
      - .actual_access:  read_only
        .address_space:  global
        .offset:         32
        .size:           8
        .value_kind:     global_buffer
      - .offset:         40
        .size:           4
        .value_kind:     by_value
      - .offset:         44
        .size:           4
        .value_kind:     by_value
      - .actual_access:  read_only
        .address_space:  global
        .offset:         48
        .size:           8
        .value_kind:     global_buffer
      - .offset:         56
        .size:           8
        .value_kind:     by_value
      - .address_space:  global
        .offset:         64
        .size:           8
        .value_kind:     global_buffer
      - .offset:         72
        .size:           4
        .value_kind:     by_value
      - .offset:         76
        .size:           1
        .value_kind:     by_value
    .group_segment_fixed_size: 256
    .kernarg_segment_align: 8
    .kernarg_segment_size: 80
    .language:       OpenCL C
    .language_version:
      - 2
      - 0
    .max_flat_workgroup_size: 64
    .name:           _ZN9rocsparseL22gebsrmvn_mxn_16_kernelILj64ELj16ELj2EfEEvi20rocsparse_direction_NS_24const_host_device_scalarIT2_EEPKiS6_PKS3_iiS8_S4_PS3_21rocsparse_index_base_b
    .private_segment_fixed_size: 0
    .sgpr_count:     20
    .sgpr_spill_count: 0
    .symbol:         _ZN9rocsparseL22gebsrmvn_mxn_16_kernelILj64ELj16ELj2EfEEvi20rocsparse_direction_NS_24const_host_device_scalarIT2_EEPKiS6_PKS3_iiS8_S4_PS3_21rocsparse_index_base_b.kd
    .uniform_work_group_size: 1
    .uses_dynamic_stack: false
    .vgpr_count:     11
    .vgpr_spill_count: 0
    .wavefront_size: 32
    .workgroup_processor_mode: 1
  - .args:
      - .offset:         0
        .size:           4
        .value_kind:     by_value
      - .offset:         4
        .size:           4
        .value_kind:     by_value
      - .offset:         8
        .size:           8
        .value_kind:     by_value
      - .actual_access:  read_only
        .address_space:  global
        .offset:         16
        .size:           8
        .value_kind:     global_buffer
      - .actual_access:  read_only
        .address_space:  global
        .offset:         24
        .size:           8
        .value_kind:     global_buffer
      - .actual_access:  read_only
        .address_space:  global
        .offset:         32
        .size:           8
        .value_kind:     global_buffer
      - .offset:         40
        .size:           4
        .value_kind:     by_value
      - .offset:         44
        .size:           4
        .value_kind:     by_value
      - .actual_access:  read_only
        .address_space:  global
        .offset:         48
        .size:           8
        .value_kind:     global_buffer
      - .offset:         56
        .size:           8
        .value_kind:     by_value
      - .address_space:  global
        .offset:         64
        .size:           8
        .value_kind:     global_buffer
      - .offset:         72
        .size:           4
        .value_kind:     by_value
      - .offset:         76
        .size:           1
        .value_kind:     by_value
    .group_segment_fixed_size: 192
    .kernarg_segment_align: 8
    .kernarg_segment_size: 80
    .language:       OpenCL C
    .language_version:
      - 2
      - 0
    .max_flat_workgroup_size: 48
    .name:           _ZN9rocsparseL22gebsrmvn_mxn_16_kernelILj48ELj16ELj3EfEEvi20rocsparse_direction_NS_24const_host_device_scalarIT2_EEPKiS6_PKS3_iiS8_S4_PS3_21rocsparse_index_base_b
    .private_segment_fixed_size: 0
    .sgpr_count:     20
    .sgpr_spill_count: 0
    .symbol:         _ZN9rocsparseL22gebsrmvn_mxn_16_kernelILj48ELj16ELj3EfEEvi20rocsparse_direction_NS_24const_host_device_scalarIT2_EEPKiS6_PKS3_iiS8_S4_PS3_21rocsparse_index_base_b.kd
    .uniform_work_group_size: 1
    .uses_dynamic_stack: false
    .vgpr_count:     11
    .vgpr_spill_count: 0
    .wavefront_size: 32
    .workgroup_processor_mode: 1
  - .args:
      - .offset:         0
        .size:           4
        .value_kind:     by_value
      - .offset:         4
        .size:           4
        .value_kind:     by_value
      - .offset:         8
        .size:           8
        .value_kind:     by_value
      - .actual_access:  read_only
        .address_space:  global
        .offset:         16
        .size:           8
        .value_kind:     global_buffer
      - .actual_access:  read_only
        .address_space:  global
        .offset:         24
        .size:           8
        .value_kind:     global_buffer
      - .actual_access:  read_only
        .address_space:  global
        .offset:         32
        .size:           8
        .value_kind:     global_buffer
      - .offset:         40
        .size:           4
        .value_kind:     by_value
      - .offset:         44
        .size:           4
        .value_kind:     by_value
      - .actual_access:  read_only
        .address_space:  global
        .offset:         48
        .size:           8
        .value_kind:     global_buffer
      - .offset:         56
        .size:           8
        .value_kind:     by_value
      - .address_space:  global
        .offset:         64
        .size:           8
        .value_kind:     global_buffer
      - .offset:         72
        .size:           4
        .value_kind:     by_value
      - .offset:         76
        .size:           1
        .value_kind:     by_value
    .group_segment_fixed_size: 256
    .kernarg_segment_align: 8
    .kernarg_segment_size: 80
    .language:       OpenCL C
    .language_version:
      - 2
      - 0
    .max_flat_workgroup_size: 64
    .name:           _ZN9rocsparseL22gebsrmvn_mxn_16_kernelILj64ELj16ELj4EfEEvi20rocsparse_direction_NS_24const_host_device_scalarIT2_EEPKiS6_PKS3_iiS8_S4_PS3_21rocsparse_index_base_b
    .private_segment_fixed_size: 0
    .sgpr_count:     20
    .sgpr_spill_count: 0
    .symbol:         _ZN9rocsparseL22gebsrmvn_mxn_16_kernelILj64ELj16ELj4EfEEvi20rocsparse_direction_NS_24const_host_device_scalarIT2_EEPKiS6_PKS3_iiS8_S4_PS3_21rocsparse_index_base_b.kd
    .uniform_work_group_size: 1
    .uses_dynamic_stack: false
    .vgpr_count:     10
    .vgpr_spill_count: 0
    .wavefront_size: 32
    .workgroup_processor_mode: 1
  - .args:
      - .offset:         0
        .size:           4
        .value_kind:     by_value
      - .offset:         4
        .size:           4
        .value_kind:     by_value
      - .offset:         8
        .size:           8
        .value_kind:     by_value
      - .actual_access:  read_only
        .address_space:  global
        .offset:         16
        .size:           8
        .value_kind:     global_buffer
      - .actual_access:  read_only
        .address_space:  global
        .offset:         24
        .size:           8
        .value_kind:     global_buffer
      - .actual_access:  read_only
        .address_space:  global
        .offset:         32
        .size:           8
        .value_kind:     global_buffer
      - .offset:         40
        .size:           4
        .value_kind:     by_value
      - .offset:         44
        .size:           4
        .value_kind:     by_value
      - .actual_access:  read_only
        .address_space:  global
        .offset:         48
        .size:           8
        .value_kind:     global_buffer
      - .offset:         56
        .size:           8
        .value_kind:     by_value
      - .address_space:  global
        .offset:         64
        .size:           8
        .value_kind:     global_buffer
      - .offset:         72
        .size:           4
        .value_kind:     by_value
      - .offset:         76
        .size:           1
        .value_kind:     by_value
    .group_segment_fixed_size: 320
    .kernarg_segment_align: 8
    .kernarg_segment_size: 80
    .language:       OpenCL C
    .language_version:
      - 2
      - 0
    .max_flat_workgroup_size: 80
    .name:           _ZN9rocsparseL22gebsrmvn_mxn_16_kernelILj80ELj16ELj5EfEEvi20rocsparse_direction_NS_24const_host_device_scalarIT2_EEPKiS6_PKS3_iiS8_S4_PS3_21rocsparse_index_base_b
    .private_segment_fixed_size: 0
    .sgpr_count:     20
    .sgpr_spill_count: 0
    .symbol:         _ZN9rocsparseL22gebsrmvn_mxn_16_kernelILj80ELj16ELj5EfEEvi20rocsparse_direction_NS_24const_host_device_scalarIT2_EEPKiS6_PKS3_iiS8_S4_PS3_21rocsparse_index_base_b.kd
    .uniform_work_group_size: 1
    .uses_dynamic_stack: false
    .vgpr_count:     11
    .vgpr_spill_count: 0
    .wavefront_size: 32
    .workgroup_processor_mode: 1
  - .args:
      - .offset:         0
        .size:           4
        .value_kind:     by_value
      - .offset:         4
        .size:           4
        .value_kind:     by_value
      - .offset:         8
        .size:           8
        .value_kind:     by_value
      - .actual_access:  read_only
        .address_space:  global
        .offset:         16
        .size:           8
        .value_kind:     global_buffer
      - .actual_access:  read_only
        .address_space:  global
        .offset:         24
        .size:           8
        .value_kind:     global_buffer
      - .actual_access:  read_only
        .address_space:  global
        .offset:         32
        .size:           8
        .value_kind:     global_buffer
      - .offset:         40
        .size:           4
        .value_kind:     by_value
      - .offset:         44
        .size:           4
        .value_kind:     by_value
      - .actual_access:  read_only
        .address_space:  global
        .offset:         48
        .size:           8
        .value_kind:     global_buffer
      - .offset:         56
        .size:           8
        .value_kind:     by_value
      - .address_space:  global
        .offset:         64
        .size:           8
        .value_kind:     global_buffer
      - .offset:         72
        .size:           4
        .value_kind:     by_value
      - .offset:         76
        .size:           1
        .value_kind:     by_value
    .group_segment_fixed_size: 384
    .kernarg_segment_align: 8
    .kernarg_segment_size: 80
    .language:       OpenCL C
    .language_version:
      - 2
      - 0
    .max_flat_workgroup_size: 96
    .name:           _ZN9rocsparseL22gebsrmvn_mxn_16_kernelILj96ELj16ELj6EfEEvi20rocsparse_direction_NS_24const_host_device_scalarIT2_EEPKiS6_PKS3_iiS8_S4_PS3_21rocsparse_index_base_b
    .private_segment_fixed_size: 0
    .sgpr_count:     20
    .sgpr_spill_count: 0
    .symbol:         _ZN9rocsparseL22gebsrmvn_mxn_16_kernelILj96ELj16ELj6EfEEvi20rocsparse_direction_NS_24const_host_device_scalarIT2_EEPKiS6_PKS3_iiS8_S4_PS3_21rocsparse_index_base_b.kd
    .uniform_work_group_size: 1
    .uses_dynamic_stack: false
    .vgpr_count:     11
    .vgpr_spill_count: 0
    .wavefront_size: 32
    .workgroup_processor_mode: 1
  - .args:
      - .offset:         0
        .size:           4
        .value_kind:     by_value
      - .offset:         4
        .size:           4
        .value_kind:     by_value
      - .offset:         8
        .size:           8
        .value_kind:     by_value
      - .actual_access:  read_only
        .address_space:  global
        .offset:         16
        .size:           8
        .value_kind:     global_buffer
      - .actual_access:  read_only
        .address_space:  global
        .offset:         24
        .size:           8
        .value_kind:     global_buffer
      - .actual_access:  read_only
        .address_space:  global
        .offset:         32
        .size:           8
        .value_kind:     global_buffer
      - .offset:         40
        .size:           4
        .value_kind:     by_value
      - .offset:         44
        .size:           4
        .value_kind:     by_value
      - .actual_access:  read_only
        .address_space:  global
        .offset:         48
        .size:           8
        .value_kind:     global_buffer
      - .offset:         56
        .size:           8
        .value_kind:     by_value
      - .address_space:  global
        .offset:         64
        .size:           8
        .value_kind:     global_buffer
      - .offset:         72
        .size:           4
        .value_kind:     by_value
      - .offset:         76
        .size:           1
        .value_kind:     by_value
    .group_segment_fixed_size: 448
    .kernarg_segment_align: 8
    .kernarg_segment_size: 80
    .language:       OpenCL C
    .language_version:
      - 2
      - 0
    .max_flat_workgroup_size: 112
    .name:           _ZN9rocsparseL22gebsrmvn_mxn_16_kernelILj112ELj16ELj7EfEEvi20rocsparse_direction_NS_24const_host_device_scalarIT2_EEPKiS6_PKS3_iiS8_S4_PS3_21rocsparse_index_base_b
    .private_segment_fixed_size: 0
    .sgpr_count:     20
    .sgpr_spill_count: 0
    .symbol:         _ZN9rocsparseL22gebsrmvn_mxn_16_kernelILj112ELj16ELj7EfEEvi20rocsparse_direction_NS_24const_host_device_scalarIT2_EEPKiS6_PKS3_iiS8_S4_PS3_21rocsparse_index_base_b.kd
    .uniform_work_group_size: 1
    .uses_dynamic_stack: false
    .vgpr_count:     11
    .vgpr_spill_count: 0
    .wavefront_size: 32
    .workgroup_processor_mode: 1
  - .args:
      - .offset:         0
        .size:           4
        .value_kind:     by_value
      - .offset:         4
        .size:           4
        .value_kind:     by_value
      - .offset:         8
        .size:           8
        .value_kind:     by_value
      - .actual_access:  read_only
        .address_space:  global
        .offset:         16
        .size:           8
        .value_kind:     global_buffer
      - .actual_access:  read_only
        .address_space:  global
        .offset:         24
        .size:           8
        .value_kind:     global_buffer
      - .actual_access:  read_only
        .address_space:  global
        .offset:         32
        .size:           8
        .value_kind:     global_buffer
      - .offset:         40
        .size:           4
        .value_kind:     by_value
      - .offset:         44
        .size:           4
        .value_kind:     by_value
      - .actual_access:  read_only
        .address_space:  global
        .offset:         48
        .size:           8
        .value_kind:     global_buffer
      - .offset:         56
        .size:           8
        .value_kind:     by_value
      - .address_space:  global
        .offset:         64
        .size:           8
        .value_kind:     global_buffer
      - .offset:         72
        .size:           4
        .value_kind:     by_value
      - .offset:         76
        .size:           1
        .value_kind:     by_value
    .group_segment_fixed_size: 512
    .kernarg_segment_align: 8
    .kernarg_segment_size: 80
    .language:       OpenCL C
    .language_version:
      - 2
      - 0
    .max_flat_workgroup_size: 128
    .name:           _ZN9rocsparseL22gebsrmvn_mxn_16_kernelILj128ELj16ELj8EfEEvi20rocsparse_direction_NS_24const_host_device_scalarIT2_EEPKiS6_PKS3_iiS8_S4_PS3_21rocsparse_index_base_b
    .private_segment_fixed_size: 0
    .sgpr_count:     20
    .sgpr_spill_count: 0
    .symbol:         _ZN9rocsparseL22gebsrmvn_mxn_16_kernelILj128ELj16ELj8EfEEvi20rocsparse_direction_NS_24const_host_device_scalarIT2_EEPKiS6_PKS3_iiS8_S4_PS3_21rocsparse_index_base_b.kd
    .uniform_work_group_size: 1
    .uses_dynamic_stack: false
    .vgpr_count:     10
    .vgpr_spill_count: 0
    .wavefront_size: 32
    .workgroup_processor_mode: 1
  - .args:
      - .offset:         0
        .size:           4
        .value_kind:     by_value
      - .offset:         4
        .size:           4
        .value_kind:     by_value
      - .offset:         8
        .size:           8
        .value_kind:     by_value
      - .actual_access:  read_only
        .address_space:  global
        .offset:         16
        .size:           8
        .value_kind:     global_buffer
      - .actual_access:  read_only
        .address_space:  global
        .offset:         24
        .size:           8
        .value_kind:     global_buffer
      - .actual_access:  read_only
        .address_space:  global
        .offset:         32
        .size:           8
        .value_kind:     global_buffer
      - .offset:         40
        .size:           4
        .value_kind:     by_value
      - .offset:         44
        .size:           4
        .value_kind:     by_value
      - .actual_access:  read_only
        .address_space:  global
        .offset:         48
        .size:           8
        .value_kind:     global_buffer
      - .offset:         56
        .size:           8
        .value_kind:     by_value
      - .address_space:  global
        .offset:         64
        .size:           8
        .value_kind:     global_buffer
      - .offset:         72
        .size:           4
        .value_kind:     by_value
      - .offset:         76
        .size:           1
        .value_kind:     by_value
    .group_segment_fixed_size: 416
    .kernarg_segment_align: 8
    .kernarg_segment_size: 80
    .language:       OpenCL C
    .language_version:
      - 2
      - 0
    .max_flat_workgroup_size: 52
    .name:           _ZN9rocsparseL22gebsrmvn_mxn_16_kernelILj52ELj13ELj1EdEEvi20rocsparse_direction_NS_24const_host_device_scalarIT2_EEPKiS6_PKS3_iiS8_S4_PS3_21rocsparse_index_base_b
    .private_segment_fixed_size: 0
    .sgpr_count:     18
    .sgpr_spill_count: 0
    .symbol:         _ZN9rocsparseL22gebsrmvn_mxn_16_kernelILj52ELj13ELj1EdEEvi20rocsparse_direction_NS_24const_host_device_scalarIT2_EEPKiS6_PKS3_iiS8_S4_PS3_21rocsparse_index_base_b.kd
    .uniform_work_group_size: 1
    .uses_dynamic_stack: false
    .vgpr_count:     14
    .vgpr_spill_count: 0
    .wavefront_size: 32
    .workgroup_processor_mode: 1
  - .args:
      - .offset:         0
        .size:           4
        .value_kind:     by_value
      - .offset:         4
        .size:           4
        .value_kind:     by_value
      - .offset:         8
        .size:           8
        .value_kind:     by_value
      - .actual_access:  read_only
        .address_space:  global
        .offset:         16
        .size:           8
        .value_kind:     global_buffer
      - .actual_access:  read_only
        .address_space:  global
        .offset:         24
        .size:           8
        .value_kind:     global_buffer
      - .actual_access:  read_only
        .address_space:  global
        .offset:         32
        .size:           8
        .value_kind:     global_buffer
      - .offset:         40
        .size:           4
        .value_kind:     by_value
      - .offset:         44
        .size:           4
        .value_kind:     by_value
      - .actual_access:  read_only
        .address_space:  global
        .offset:         48
        .size:           8
        .value_kind:     global_buffer
      - .offset:         56
        .size:           8
        .value_kind:     by_value
      - .address_space:  global
        .offset:         64
        .size:           8
        .value_kind:     global_buffer
      - .offset:         72
        .size:           4
        .value_kind:     by_value
      - .offset:         76
        .size:           1
        .value_kind:     by_value
    .group_segment_fixed_size: 416
    .kernarg_segment_align: 8
    .kernarg_segment_size: 80
    .language:       OpenCL C
    .language_version:
      - 2
      - 0
    .max_flat_workgroup_size: 52
    .name:           _ZN9rocsparseL22gebsrmvn_mxn_16_kernelILj52ELj13ELj2EdEEvi20rocsparse_direction_NS_24const_host_device_scalarIT2_EEPKiS6_PKS3_iiS8_S4_PS3_21rocsparse_index_base_b
    .private_segment_fixed_size: 0
    .sgpr_count:     18
    .sgpr_spill_count: 0
    .symbol:         _ZN9rocsparseL22gebsrmvn_mxn_16_kernelILj52ELj13ELj2EdEEvi20rocsparse_direction_NS_24const_host_device_scalarIT2_EEPKiS6_PKS3_iiS8_S4_PS3_21rocsparse_index_base_b.kd
    .uniform_work_group_size: 1
    .uses_dynamic_stack: false
    .vgpr_count:     16
    .vgpr_spill_count: 0
    .wavefront_size: 32
    .workgroup_processor_mode: 1
  - .args:
      - .offset:         0
        .size:           4
        .value_kind:     by_value
      - .offset:         4
        .size:           4
        .value_kind:     by_value
      - .offset:         8
        .size:           8
        .value_kind:     by_value
      - .actual_access:  read_only
        .address_space:  global
        .offset:         16
        .size:           8
        .value_kind:     global_buffer
      - .actual_access:  read_only
        .address_space:  global
        .offset:         24
        .size:           8
        .value_kind:     global_buffer
      - .actual_access:  read_only
        .address_space:  global
        .offset:         32
        .size:           8
        .value_kind:     global_buffer
      - .offset:         40
        .size:           4
        .value_kind:     by_value
      - .offset:         44
        .size:           4
        .value_kind:     by_value
      - .actual_access:  read_only
        .address_space:  global
        .offset:         48
        .size:           8
        .value_kind:     global_buffer
      - .offset:         56
        .size:           8
        .value_kind:     by_value
      - .address_space:  global
        .offset:         64
        .size:           8
        .value_kind:     global_buffer
      - .offset:         72
        .size:           4
        .value_kind:     by_value
      - .offset:         76
        .size:           1
        .value_kind:     by_value
    .group_segment_fixed_size: 312
    .kernarg_segment_align: 8
    .kernarg_segment_size: 80
    .language:       OpenCL C
    .language_version:
      - 2
      - 0
    .max_flat_workgroup_size: 39
    .name:           _ZN9rocsparseL22gebsrmvn_mxn_16_kernelILj39ELj13ELj3EdEEvi20rocsparse_direction_NS_24const_host_device_scalarIT2_EEPKiS6_PKS3_iiS8_S4_PS3_21rocsparse_index_base_b
    .private_segment_fixed_size: 0
    .sgpr_count:     18
    .sgpr_spill_count: 0
    .symbol:         _ZN9rocsparseL22gebsrmvn_mxn_16_kernelILj39ELj13ELj3EdEEvi20rocsparse_direction_NS_24const_host_device_scalarIT2_EEPKiS6_PKS3_iiS8_S4_PS3_21rocsparse_index_base_b.kd
    .uniform_work_group_size: 1
    .uses_dynamic_stack: false
    .vgpr_count:     16
    .vgpr_spill_count: 0
    .wavefront_size: 32
    .workgroup_processor_mode: 1
  - .args:
      - .offset:         0
        .size:           4
        .value_kind:     by_value
      - .offset:         4
        .size:           4
        .value_kind:     by_value
      - .offset:         8
        .size:           8
        .value_kind:     by_value
      - .actual_access:  read_only
        .address_space:  global
        .offset:         16
        .size:           8
        .value_kind:     global_buffer
      - .actual_access:  read_only
        .address_space:  global
        .offset:         24
        .size:           8
        .value_kind:     global_buffer
      - .actual_access:  read_only
        .address_space:  global
        .offset:         32
        .size:           8
        .value_kind:     global_buffer
      - .offset:         40
        .size:           4
        .value_kind:     by_value
      - .offset:         44
        .size:           4
        .value_kind:     by_value
      - .actual_access:  read_only
        .address_space:  global
        .offset:         48
        .size:           8
        .value_kind:     global_buffer
      - .offset:         56
        .size:           8
        .value_kind:     by_value
      - .address_space:  global
        .offset:         64
        .size:           8
        .value_kind:     global_buffer
      - .offset:         72
        .size:           4
        .value_kind:     by_value
      - .offset:         76
        .size:           1
        .value_kind:     by_value
    .group_segment_fixed_size: 416
    .kernarg_segment_align: 8
    .kernarg_segment_size: 80
    .language:       OpenCL C
    .language_version:
      - 2
      - 0
    .max_flat_workgroup_size: 52
    .name:           _ZN9rocsparseL22gebsrmvn_mxn_16_kernelILj52ELj13ELj4EdEEvi20rocsparse_direction_NS_24const_host_device_scalarIT2_EEPKiS6_PKS3_iiS8_S4_PS3_21rocsparse_index_base_b
    .private_segment_fixed_size: 0
    .sgpr_count:     18
    .sgpr_spill_count: 0
    .symbol:         _ZN9rocsparseL22gebsrmvn_mxn_16_kernelILj52ELj13ELj4EdEEvi20rocsparse_direction_NS_24const_host_device_scalarIT2_EEPKiS6_PKS3_iiS8_S4_PS3_21rocsparse_index_base_b.kd
    .uniform_work_group_size: 1
    .uses_dynamic_stack: false
    .vgpr_count:     16
    .vgpr_spill_count: 0
    .wavefront_size: 32
    .workgroup_processor_mode: 1
  - .args:
      - .offset:         0
        .size:           4
        .value_kind:     by_value
      - .offset:         4
        .size:           4
        .value_kind:     by_value
      - .offset:         8
        .size:           8
        .value_kind:     by_value
      - .actual_access:  read_only
        .address_space:  global
        .offset:         16
        .size:           8
        .value_kind:     global_buffer
      - .actual_access:  read_only
        .address_space:  global
        .offset:         24
        .size:           8
        .value_kind:     global_buffer
      - .actual_access:  read_only
        .address_space:  global
        .offset:         32
        .size:           8
        .value_kind:     global_buffer
      - .offset:         40
        .size:           4
        .value_kind:     by_value
      - .offset:         44
        .size:           4
        .value_kind:     by_value
      - .actual_access:  read_only
        .address_space:  global
        .offset:         48
        .size:           8
        .value_kind:     global_buffer
      - .offset:         56
        .size:           8
        .value_kind:     by_value
      - .address_space:  global
        .offset:         64
        .size:           8
        .value_kind:     global_buffer
      - .offset:         72
        .size:           4
        .value_kind:     by_value
      - .offset:         76
        .size:           1
        .value_kind:     by_value
    .group_segment_fixed_size: 520
    .kernarg_segment_align: 8
    .kernarg_segment_size: 80
    .language:       OpenCL C
    .language_version:
      - 2
      - 0
    .max_flat_workgroup_size: 65
    .name:           _ZN9rocsparseL22gebsrmvn_mxn_16_kernelILj65ELj13ELj5EdEEvi20rocsparse_direction_NS_24const_host_device_scalarIT2_EEPKiS6_PKS3_iiS8_S4_PS3_21rocsparse_index_base_b
    .private_segment_fixed_size: 0
    .sgpr_count:     18
    .sgpr_spill_count: 0
    .symbol:         _ZN9rocsparseL22gebsrmvn_mxn_16_kernelILj65ELj13ELj5EdEEvi20rocsparse_direction_NS_24const_host_device_scalarIT2_EEPKiS6_PKS3_iiS8_S4_PS3_21rocsparse_index_base_b.kd
    .uniform_work_group_size: 1
    .uses_dynamic_stack: false
    .vgpr_count:     17
    .vgpr_spill_count: 0
    .wavefront_size: 32
    .workgroup_processor_mode: 1
  - .args:
      - .offset:         0
        .size:           4
        .value_kind:     by_value
      - .offset:         4
        .size:           4
        .value_kind:     by_value
      - .offset:         8
        .size:           8
        .value_kind:     by_value
      - .actual_access:  read_only
        .address_space:  global
        .offset:         16
        .size:           8
        .value_kind:     global_buffer
      - .actual_access:  read_only
        .address_space:  global
        .offset:         24
        .size:           8
        .value_kind:     global_buffer
      - .actual_access:  read_only
        .address_space:  global
        .offset:         32
        .size:           8
        .value_kind:     global_buffer
      - .offset:         40
        .size:           4
        .value_kind:     by_value
      - .offset:         44
        .size:           4
        .value_kind:     by_value
      - .actual_access:  read_only
        .address_space:  global
        .offset:         48
        .size:           8
        .value_kind:     global_buffer
      - .offset:         56
        .size:           8
        .value_kind:     by_value
      - .address_space:  global
        .offset:         64
        .size:           8
        .value_kind:     global_buffer
      - .offset:         72
        .size:           4
        .value_kind:     by_value
      - .offset:         76
        .size:           1
        .value_kind:     by_value
    .group_segment_fixed_size: 624
    .kernarg_segment_align: 8
    .kernarg_segment_size: 80
    .language:       OpenCL C
    .language_version:
      - 2
      - 0
    .max_flat_workgroup_size: 78
    .name:           _ZN9rocsparseL22gebsrmvn_mxn_16_kernelILj78ELj13ELj6EdEEvi20rocsparse_direction_NS_24const_host_device_scalarIT2_EEPKiS6_PKS3_iiS8_S4_PS3_21rocsparse_index_base_b
    .private_segment_fixed_size: 0
    .sgpr_count:     18
    .sgpr_spill_count: 0
    .symbol:         _ZN9rocsparseL22gebsrmvn_mxn_16_kernelILj78ELj13ELj6EdEEvi20rocsparse_direction_NS_24const_host_device_scalarIT2_EEPKiS6_PKS3_iiS8_S4_PS3_21rocsparse_index_base_b.kd
    .uniform_work_group_size: 1
    .uses_dynamic_stack: false
    .vgpr_count:     17
    .vgpr_spill_count: 0
    .wavefront_size: 32
    .workgroup_processor_mode: 1
  - .args:
      - .offset:         0
        .size:           4
        .value_kind:     by_value
      - .offset:         4
        .size:           4
        .value_kind:     by_value
      - .offset:         8
        .size:           8
        .value_kind:     by_value
      - .actual_access:  read_only
        .address_space:  global
        .offset:         16
        .size:           8
        .value_kind:     global_buffer
      - .actual_access:  read_only
        .address_space:  global
        .offset:         24
        .size:           8
        .value_kind:     global_buffer
      - .actual_access:  read_only
        .address_space:  global
        .offset:         32
        .size:           8
        .value_kind:     global_buffer
      - .offset:         40
        .size:           4
        .value_kind:     by_value
      - .offset:         44
        .size:           4
        .value_kind:     by_value
      - .actual_access:  read_only
        .address_space:  global
        .offset:         48
        .size:           8
        .value_kind:     global_buffer
      - .offset:         56
        .size:           8
        .value_kind:     by_value
      - .address_space:  global
        .offset:         64
        .size:           8
        .value_kind:     global_buffer
      - .offset:         72
        .size:           4
        .value_kind:     by_value
      - .offset:         76
        .size:           1
        .value_kind:     by_value
    .group_segment_fixed_size: 728
    .kernarg_segment_align: 8
    .kernarg_segment_size: 80
    .language:       OpenCL C
    .language_version:
      - 2
      - 0
    .max_flat_workgroup_size: 91
    .name:           _ZN9rocsparseL22gebsrmvn_mxn_16_kernelILj91ELj13ELj7EdEEvi20rocsparse_direction_NS_24const_host_device_scalarIT2_EEPKiS6_PKS3_iiS8_S4_PS3_21rocsparse_index_base_b
    .private_segment_fixed_size: 0
    .sgpr_count:     18
    .sgpr_spill_count: 0
    .symbol:         _ZN9rocsparseL22gebsrmvn_mxn_16_kernelILj91ELj13ELj7EdEEvi20rocsparse_direction_NS_24const_host_device_scalarIT2_EEPKiS6_PKS3_iiS8_S4_PS3_21rocsparse_index_base_b.kd
    .uniform_work_group_size: 1
    .uses_dynamic_stack: false
    .vgpr_count:     17
    .vgpr_spill_count: 0
    .wavefront_size: 32
    .workgroup_processor_mode: 1
  - .args:
      - .offset:         0
        .size:           4
        .value_kind:     by_value
      - .offset:         4
        .size:           4
        .value_kind:     by_value
      - .offset:         8
        .size:           8
        .value_kind:     by_value
      - .actual_access:  read_only
        .address_space:  global
        .offset:         16
        .size:           8
        .value_kind:     global_buffer
      - .actual_access:  read_only
        .address_space:  global
        .offset:         24
        .size:           8
        .value_kind:     global_buffer
      - .actual_access:  read_only
        .address_space:  global
        .offset:         32
        .size:           8
        .value_kind:     global_buffer
      - .offset:         40
        .size:           4
        .value_kind:     by_value
      - .offset:         44
        .size:           4
        .value_kind:     by_value
      - .actual_access:  read_only
        .address_space:  global
        .offset:         48
        .size:           8
        .value_kind:     global_buffer
      - .offset:         56
        .size:           8
        .value_kind:     by_value
      - .address_space:  global
        .offset:         64
        .size:           8
        .value_kind:     global_buffer
      - .offset:         72
        .size:           4
        .value_kind:     by_value
      - .offset:         76
        .size:           1
        .value_kind:     by_value
    .group_segment_fixed_size: 832
    .kernarg_segment_align: 8
    .kernarg_segment_size: 80
    .language:       OpenCL C
    .language_version:
      - 2
      - 0
    .max_flat_workgroup_size: 104
    .name:           _ZN9rocsparseL22gebsrmvn_mxn_16_kernelILj104ELj13ELj8EdEEvi20rocsparse_direction_NS_24const_host_device_scalarIT2_EEPKiS6_PKS3_iiS8_S4_PS3_21rocsparse_index_base_b
    .private_segment_fixed_size: 0
    .sgpr_count:     18
    .sgpr_spill_count: 0
    .symbol:         _ZN9rocsparseL22gebsrmvn_mxn_16_kernelILj104ELj13ELj8EdEEvi20rocsparse_direction_NS_24const_host_device_scalarIT2_EEPKiS6_PKS3_iiS8_S4_PS3_21rocsparse_index_base_b.kd
    .uniform_work_group_size: 1
    .uses_dynamic_stack: false
    .vgpr_count:     16
    .vgpr_spill_count: 0
    .wavefront_size: 32
    .workgroup_processor_mode: 1
  - .args:
      - .offset:         0
        .size:           4
        .value_kind:     by_value
      - .offset:         4
        .size:           4
        .value_kind:     by_value
      - .offset:         8
        .size:           8
        .value_kind:     by_value
      - .actual_access:  read_only
        .address_space:  global
        .offset:         16
        .size:           8
        .value_kind:     global_buffer
      - .actual_access:  read_only
        .address_space:  global
        .offset:         24
        .size:           8
        .value_kind:     global_buffer
      - .actual_access:  read_only
        .address_space:  global
        .offset:         32
        .size:           8
        .value_kind:     global_buffer
      - .offset:         40
        .size:           4
        .value_kind:     by_value
      - .offset:         44
        .size:           4
        .value_kind:     by_value
      - .actual_access:  read_only
        .address_space:  global
        .offset:         48
        .size:           8
        .value_kind:     global_buffer
      - .offset:         56
        .size:           8
        .value_kind:     by_value
      - .address_space:  global
        .offset:         64
        .size:           8
        .value_kind:     global_buffer
      - .offset:         72
        .size:           4
        .value_kind:     by_value
      - .offset:         76
        .size:           1
        .value_kind:     by_value
    .group_segment_fixed_size: 0
    .kernarg_segment_align: 8
    .kernarg_segment_size: 80
    .language:       OpenCL C
    .language_version:
      - 2
      - 0
    .max_flat_workgroup_size: 256
    .name:           _ZN9rocsparseL23gebsrmvn_general_kernelILj256ELj16EdEEvi20rocsparse_direction_NS_24const_host_device_scalarIT1_EEPKiS6_PKS3_iiS8_S4_PS3_21rocsparse_index_base_b
    .private_segment_fixed_size: 0
    .sgpr_count:     30
    .sgpr_spill_count: 0
    .symbol:         _ZN9rocsparseL23gebsrmvn_general_kernelILj256ELj16EdEEvi20rocsparse_direction_NS_24const_host_device_scalarIT1_EEPKiS6_PKS3_iiS8_S4_PS3_21rocsparse_index_base_b.kd
    .uniform_work_group_size: 1
    .uses_dynamic_stack: false
    .vgpr_count:     19
    .vgpr_spill_count: 0
    .wavefront_size: 32
    .workgroup_processor_mode: 1
  - .args:
      - .offset:         0
        .size:           4
        .value_kind:     by_value
      - .offset:         4
        .size:           4
        .value_kind:     by_value
      - .offset:         8
        .size:           8
        .value_kind:     by_value
      - .actual_access:  read_only
        .address_space:  global
        .offset:         16
        .size:           8
        .value_kind:     global_buffer
      - .actual_access:  read_only
        .address_space:  global
        .offset:         24
        .size:           8
        .value_kind:     global_buffer
      - .actual_access:  read_only
        .address_space:  global
        .offset:         32
        .size:           8
        .value_kind:     global_buffer
      - .offset:         40
        .size:           4
        .value_kind:     by_value
      - .offset:         44
        .size:           4
        .value_kind:     by_value
      - .actual_access:  read_only
        .address_space:  global
        .offset:         48
        .size:           8
        .value_kind:     global_buffer
      - .offset:         56
        .size:           8
        .value_kind:     by_value
      - .address_space:  global
        .offset:         64
        .size:           8
        .value_kind:     global_buffer
      - .offset:         72
        .size:           4
        .value_kind:     by_value
      - .offset:         76
        .size:           1
        .value_kind:     by_value
    .group_segment_fixed_size: 0
    .kernarg_segment_align: 8
    .kernarg_segment_size: 80
    .language:       OpenCL C
    .language_version:
      - 2
      - 0
    .max_flat_workgroup_size: 512
    .name:           _ZN9rocsparseL23gebsrmvn_general_kernelILj512ELj32EdEEvi20rocsparse_direction_NS_24const_host_device_scalarIT1_EEPKiS6_PKS3_iiS8_S4_PS3_21rocsparse_index_base_b
    .private_segment_fixed_size: 0
    .sgpr_count:     30
    .sgpr_spill_count: 0
    .symbol:         _ZN9rocsparseL23gebsrmvn_general_kernelILj512ELj32EdEEvi20rocsparse_direction_NS_24const_host_device_scalarIT1_EEPKiS6_PKS3_iiS8_S4_PS3_21rocsparse_index_base_b.kd
    .uniform_work_group_size: 1
    .uses_dynamic_stack: false
    .vgpr_count:     20
    .vgpr_spill_count: 0
    .wavefront_size: 32
    .workgroup_processor_mode: 1
  - .args:
      - .offset:         0
        .size:           4
        .value_kind:     by_value
      - .offset:         4
        .size:           4
        .value_kind:     by_value
      - .offset:         8
        .size:           8
        .value_kind:     by_value
      - .actual_access:  read_only
        .address_space:  global
        .offset:         16
        .size:           8
        .value_kind:     global_buffer
      - .actual_access:  read_only
        .address_space:  global
        .offset:         24
        .size:           8
        .value_kind:     global_buffer
      - .actual_access:  read_only
        .address_space:  global
        .offset:         32
        .size:           8
        .value_kind:     global_buffer
      - .offset:         40
        .size:           4
        .value_kind:     by_value
      - .offset:         44
        .size:           4
        .value_kind:     by_value
      - .actual_access:  read_only
        .address_space:  global
        .offset:         48
        .size:           8
        .value_kind:     global_buffer
      - .offset:         56
        .size:           8
        .value_kind:     by_value
      - .address_space:  global
        .offset:         64
        .size:           8
        .value_kind:     global_buffer
      - .offset:         72
        .size:           4
        .value_kind:     by_value
      - .offset:         76
        .size:           1
        .value_kind:     by_value
    .group_segment_fixed_size: 448
    .kernarg_segment_align: 8
    .kernarg_segment_size: 80
    .language:       OpenCL C
    .language_version:
      - 2
      - 0
    .max_flat_workgroup_size: 56
    .name:           _ZN9rocsparseL22gebsrmvn_mxn_16_kernelILj56ELj14ELj1EdEEvi20rocsparse_direction_NS_24const_host_device_scalarIT2_EEPKiS6_PKS3_iiS8_S4_PS3_21rocsparse_index_base_b
    .private_segment_fixed_size: 0
    .sgpr_count:     18
    .sgpr_spill_count: 0
    .symbol:         _ZN9rocsparseL22gebsrmvn_mxn_16_kernelILj56ELj14ELj1EdEEvi20rocsparse_direction_NS_24const_host_device_scalarIT2_EEPKiS6_PKS3_iiS8_S4_PS3_21rocsparse_index_base_b.kd
    .uniform_work_group_size: 1
    .uses_dynamic_stack: false
    .vgpr_count:     14
    .vgpr_spill_count: 0
    .wavefront_size: 32
    .workgroup_processor_mode: 1
  - .args:
      - .offset:         0
        .size:           4
        .value_kind:     by_value
      - .offset:         4
        .size:           4
        .value_kind:     by_value
      - .offset:         8
        .size:           8
        .value_kind:     by_value
      - .actual_access:  read_only
        .address_space:  global
        .offset:         16
        .size:           8
        .value_kind:     global_buffer
      - .actual_access:  read_only
        .address_space:  global
        .offset:         24
        .size:           8
        .value_kind:     global_buffer
      - .actual_access:  read_only
        .address_space:  global
        .offset:         32
        .size:           8
        .value_kind:     global_buffer
      - .offset:         40
        .size:           4
        .value_kind:     by_value
      - .offset:         44
        .size:           4
        .value_kind:     by_value
      - .actual_access:  read_only
        .address_space:  global
        .offset:         48
        .size:           8
        .value_kind:     global_buffer
      - .offset:         56
        .size:           8
        .value_kind:     by_value
      - .address_space:  global
        .offset:         64
        .size:           8
        .value_kind:     global_buffer
      - .offset:         72
        .size:           4
        .value_kind:     by_value
      - .offset:         76
        .size:           1
        .value_kind:     by_value
    .group_segment_fixed_size: 448
    .kernarg_segment_align: 8
    .kernarg_segment_size: 80
    .language:       OpenCL C
    .language_version:
      - 2
      - 0
    .max_flat_workgroup_size: 56
    .name:           _ZN9rocsparseL22gebsrmvn_mxn_16_kernelILj56ELj14ELj2EdEEvi20rocsparse_direction_NS_24const_host_device_scalarIT2_EEPKiS6_PKS3_iiS8_S4_PS3_21rocsparse_index_base_b
    .private_segment_fixed_size: 0
    .sgpr_count:     18
    .sgpr_spill_count: 0
    .symbol:         _ZN9rocsparseL22gebsrmvn_mxn_16_kernelILj56ELj14ELj2EdEEvi20rocsparse_direction_NS_24const_host_device_scalarIT2_EEPKiS6_PKS3_iiS8_S4_PS3_21rocsparse_index_base_b.kd
    .uniform_work_group_size: 1
    .uses_dynamic_stack: false
    .vgpr_count:     16
    .vgpr_spill_count: 0
    .wavefront_size: 32
    .workgroup_processor_mode: 1
  - .args:
      - .offset:         0
        .size:           4
        .value_kind:     by_value
      - .offset:         4
        .size:           4
        .value_kind:     by_value
      - .offset:         8
        .size:           8
        .value_kind:     by_value
      - .actual_access:  read_only
        .address_space:  global
        .offset:         16
        .size:           8
        .value_kind:     global_buffer
      - .actual_access:  read_only
        .address_space:  global
        .offset:         24
        .size:           8
        .value_kind:     global_buffer
      - .actual_access:  read_only
        .address_space:  global
        .offset:         32
        .size:           8
        .value_kind:     global_buffer
      - .offset:         40
        .size:           4
        .value_kind:     by_value
      - .offset:         44
        .size:           4
        .value_kind:     by_value
      - .actual_access:  read_only
        .address_space:  global
        .offset:         48
        .size:           8
        .value_kind:     global_buffer
      - .offset:         56
        .size:           8
        .value_kind:     by_value
      - .address_space:  global
        .offset:         64
        .size:           8
        .value_kind:     global_buffer
      - .offset:         72
        .size:           4
        .value_kind:     by_value
      - .offset:         76
        .size:           1
        .value_kind:     by_value
    .group_segment_fixed_size: 336
    .kernarg_segment_align: 8
    .kernarg_segment_size: 80
    .language:       OpenCL C
    .language_version:
      - 2
      - 0
    .max_flat_workgroup_size: 42
    .name:           _ZN9rocsparseL22gebsrmvn_mxn_16_kernelILj42ELj14ELj3EdEEvi20rocsparse_direction_NS_24const_host_device_scalarIT2_EEPKiS6_PKS3_iiS8_S4_PS3_21rocsparse_index_base_b
    .private_segment_fixed_size: 0
    .sgpr_count:     18
    .sgpr_spill_count: 0
    .symbol:         _ZN9rocsparseL22gebsrmvn_mxn_16_kernelILj42ELj14ELj3EdEEvi20rocsparse_direction_NS_24const_host_device_scalarIT2_EEPKiS6_PKS3_iiS8_S4_PS3_21rocsparse_index_base_b.kd
    .uniform_work_group_size: 1
    .uses_dynamic_stack: false
    .vgpr_count:     16
    .vgpr_spill_count: 0
    .wavefront_size: 32
    .workgroup_processor_mode: 1
  - .args:
      - .offset:         0
        .size:           4
        .value_kind:     by_value
      - .offset:         4
        .size:           4
        .value_kind:     by_value
      - .offset:         8
        .size:           8
        .value_kind:     by_value
      - .actual_access:  read_only
        .address_space:  global
        .offset:         16
        .size:           8
        .value_kind:     global_buffer
      - .actual_access:  read_only
        .address_space:  global
        .offset:         24
        .size:           8
        .value_kind:     global_buffer
      - .actual_access:  read_only
        .address_space:  global
        .offset:         32
        .size:           8
        .value_kind:     global_buffer
      - .offset:         40
        .size:           4
        .value_kind:     by_value
      - .offset:         44
        .size:           4
        .value_kind:     by_value
      - .actual_access:  read_only
        .address_space:  global
        .offset:         48
        .size:           8
        .value_kind:     global_buffer
      - .offset:         56
        .size:           8
        .value_kind:     by_value
      - .address_space:  global
        .offset:         64
        .size:           8
        .value_kind:     global_buffer
      - .offset:         72
        .size:           4
        .value_kind:     by_value
      - .offset:         76
        .size:           1
        .value_kind:     by_value
    .group_segment_fixed_size: 448
    .kernarg_segment_align: 8
    .kernarg_segment_size: 80
    .language:       OpenCL C
    .language_version:
      - 2
      - 0
    .max_flat_workgroup_size: 56
    .name:           _ZN9rocsparseL22gebsrmvn_mxn_16_kernelILj56ELj14ELj4EdEEvi20rocsparse_direction_NS_24const_host_device_scalarIT2_EEPKiS6_PKS3_iiS8_S4_PS3_21rocsparse_index_base_b
    .private_segment_fixed_size: 0
    .sgpr_count:     18
    .sgpr_spill_count: 0
    .symbol:         _ZN9rocsparseL22gebsrmvn_mxn_16_kernelILj56ELj14ELj4EdEEvi20rocsparse_direction_NS_24const_host_device_scalarIT2_EEPKiS6_PKS3_iiS8_S4_PS3_21rocsparse_index_base_b.kd
    .uniform_work_group_size: 1
    .uses_dynamic_stack: false
    .vgpr_count:     16
    .vgpr_spill_count: 0
    .wavefront_size: 32
    .workgroup_processor_mode: 1
  - .args:
      - .offset:         0
        .size:           4
        .value_kind:     by_value
      - .offset:         4
        .size:           4
        .value_kind:     by_value
      - .offset:         8
        .size:           8
        .value_kind:     by_value
      - .actual_access:  read_only
        .address_space:  global
        .offset:         16
        .size:           8
        .value_kind:     global_buffer
      - .actual_access:  read_only
        .address_space:  global
        .offset:         24
        .size:           8
        .value_kind:     global_buffer
      - .actual_access:  read_only
        .address_space:  global
        .offset:         32
        .size:           8
        .value_kind:     global_buffer
      - .offset:         40
        .size:           4
        .value_kind:     by_value
      - .offset:         44
        .size:           4
        .value_kind:     by_value
      - .actual_access:  read_only
        .address_space:  global
        .offset:         48
        .size:           8
        .value_kind:     global_buffer
      - .offset:         56
        .size:           8
        .value_kind:     by_value
      - .address_space:  global
        .offset:         64
        .size:           8
        .value_kind:     global_buffer
      - .offset:         72
        .size:           4
        .value_kind:     by_value
      - .offset:         76
        .size:           1
        .value_kind:     by_value
    .group_segment_fixed_size: 560
    .kernarg_segment_align: 8
    .kernarg_segment_size: 80
    .language:       OpenCL C
    .language_version:
      - 2
      - 0
    .max_flat_workgroup_size: 70
    .name:           _ZN9rocsparseL22gebsrmvn_mxn_16_kernelILj70ELj14ELj5EdEEvi20rocsparse_direction_NS_24const_host_device_scalarIT2_EEPKiS6_PKS3_iiS8_S4_PS3_21rocsparse_index_base_b
    .private_segment_fixed_size: 0
    .sgpr_count:     18
    .sgpr_spill_count: 0
    .symbol:         _ZN9rocsparseL22gebsrmvn_mxn_16_kernelILj70ELj14ELj5EdEEvi20rocsparse_direction_NS_24const_host_device_scalarIT2_EEPKiS6_PKS3_iiS8_S4_PS3_21rocsparse_index_base_b.kd
    .uniform_work_group_size: 1
    .uses_dynamic_stack: false
    .vgpr_count:     17
    .vgpr_spill_count: 0
    .wavefront_size: 32
    .workgroup_processor_mode: 1
  - .args:
      - .offset:         0
        .size:           4
        .value_kind:     by_value
      - .offset:         4
        .size:           4
        .value_kind:     by_value
      - .offset:         8
        .size:           8
        .value_kind:     by_value
      - .actual_access:  read_only
        .address_space:  global
        .offset:         16
        .size:           8
        .value_kind:     global_buffer
      - .actual_access:  read_only
        .address_space:  global
        .offset:         24
        .size:           8
        .value_kind:     global_buffer
      - .actual_access:  read_only
        .address_space:  global
        .offset:         32
        .size:           8
        .value_kind:     global_buffer
      - .offset:         40
        .size:           4
        .value_kind:     by_value
      - .offset:         44
        .size:           4
        .value_kind:     by_value
      - .actual_access:  read_only
        .address_space:  global
        .offset:         48
        .size:           8
        .value_kind:     global_buffer
      - .offset:         56
        .size:           8
        .value_kind:     by_value
      - .address_space:  global
        .offset:         64
        .size:           8
        .value_kind:     global_buffer
      - .offset:         72
        .size:           4
        .value_kind:     by_value
      - .offset:         76
        .size:           1
        .value_kind:     by_value
    .group_segment_fixed_size: 672
    .kernarg_segment_align: 8
    .kernarg_segment_size: 80
    .language:       OpenCL C
    .language_version:
      - 2
      - 0
    .max_flat_workgroup_size: 84
    .name:           _ZN9rocsparseL22gebsrmvn_mxn_16_kernelILj84ELj14ELj6EdEEvi20rocsparse_direction_NS_24const_host_device_scalarIT2_EEPKiS6_PKS3_iiS8_S4_PS3_21rocsparse_index_base_b
    .private_segment_fixed_size: 0
    .sgpr_count:     18
    .sgpr_spill_count: 0
    .symbol:         _ZN9rocsparseL22gebsrmvn_mxn_16_kernelILj84ELj14ELj6EdEEvi20rocsparse_direction_NS_24const_host_device_scalarIT2_EEPKiS6_PKS3_iiS8_S4_PS3_21rocsparse_index_base_b.kd
    .uniform_work_group_size: 1
    .uses_dynamic_stack: false
    .vgpr_count:     17
    .vgpr_spill_count: 0
    .wavefront_size: 32
    .workgroup_processor_mode: 1
  - .args:
      - .offset:         0
        .size:           4
        .value_kind:     by_value
      - .offset:         4
        .size:           4
        .value_kind:     by_value
      - .offset:         8
        .size:           8
        .value_kind:     by_value
      - .actual_access:  read_only
        .address_space:  global
        .offset:         16
        .size:           8
        .value_kind:     global_buffer
      - .actual_access:  read_only
        .address_space:  global
        .offset:         24
        .size:           8
        .value_kind:     global_buffer
      - .actual_access:  read_only
        .address_space:  global
        .offset:         32
        .size:           8
        .value_kind:     global_buffer
      - .offset:         40
        .size:           4
        .value_kind:     by_value
      - .offset:         44
        .size:           4
        .value_kind:     by_value
      - .actual_access:  read_only
        .address_space:  global
        .offset:         48
        .size:           8
        .value_kind:     global_buffer
      - .offset:         56
        .size:           8
        .value_kind:     by_value
      - .address_space:  global
        .offset:         64
        .size:           8
        .value_kind:     global_buffer
      - .offset:         72
        .size:           4
        .value_kind:     by_value
      - .offset:         76
        .size:           1
        .value_kind:     by_value
    .group_segment_fixed_size: 784
    .kernarg_segment_align: 8
    .kernarg_segment_size: 80
    .language:       OpenCL C
    .language_version:
      - 2
      - 0
    .max_flat_workgroup_size: 98
    .name:           _ZN9rocsparseL22gebsrmvn_mxn_16_kernelILj98ELj14ELj7EdEEvi20rocsparse_direction_NS_24const_host_device_scalarIT2_EEPKiS6_PKS3_iiS8_S4_PS3_21rocsparse_index_base_b
    .private_segment_fixed_size: 0
    .sgpr_count:     18
    .sgpr_spill_count: 0
    .symbol:         _ZN9rocsparseL22gebsrmvn_mxn_16_kernelILj98ELj14ELj7EdEEvi20rocsparse_direction_NS_24const_host_device_scalarIT2_EEPKiS6_PKS3_iiS8_S4_PS3_21rocsparse_index_base_b.kd
    .uniform_work_group_size: 1
    .uses_dynamic_stack: false
    .vgpr_count:     17
    .vgpr_spill_count: 0
    .wavefront_size: 32
    .workgroup_processor_mode: 1
  - .args:
      - .offset:         0
        .size:           4
        .value_kind:     by_value
      - .offset:         4
        .size:           4
        .value_kind:     by_value
      - .offset:         8
        .size:           8
        .value_kind:     by_value
      - .actual_access:  read_only
        .address_space:  global
        .offset:         16
        .size:           8
        .value_kind:     global_buffer
      - .actual_access:  read_only
        .address_space:  global
        .offset:         24
        .size:           8
        .value_kind:     global_buffer
      - .actual_access:  read_only
        .address_space:  global
        .offset:         32
        .size:           8
        .value_kind:     global_buffer
      - .offset:         40
        .size:           4
        .value_kind:     by_value
      - .offset:         44
        .size:           4
        .value_kind:     by_value
      - .actual_access:  read_only
        .address_space:  global
        .offset:         48
        .size:           8
        .value_kind:     global_buffer
      - .offset:         56
        .size:           8
        .value_kind:     by_value
      - .address_space:  global
        .offset:         64
        .size:           8
        .value_kind:     global_buffer
      - .offset:         72
        .size:           4
        .value_kind:     by_value
      - .offset:         76
        .size:           1
        .value_kind:     by_value
    .group_segment_fixed_size: 896
    .kernarg_segment_align: 8
    .kernarg_segment_size: 80
    .language:       OpenCL C
    .language_version:
      - 2
      - 0
    .max_flat_workgroup_size: 112
    .name:           _ZN9rocsparseL22gebsrmvn_mxn_16_kernelILj112ELj14ELj8EdEEvi20rocsparse_direction_NS_24const_host_device_scalarIT2_EEPKiS6_PKS3_iiS8_S4_PS3_21rocsparse_index_base_b
    .private_segment_fixed_size: 0
    .sgpr_count:     18
    .sgpr_spill_count: 0
    .symbol:         _ZN9rocsparseL22gebsrmvn_mxn_16_kernelILj112ELj14ELj8EdEEvi20rocsparse_direction_NS_24const_host_device_scalarIT2_EEPKiS6_PKS3_iiS8_S4_PS3_21rocsparse_index_base_b.kd
    .uniform_work_group_size: 1
    .uses_dynamic_stack: false
    .vgpr_count:     16
    .vgpr_spill_count: 0
    .wavefront_size: 32
    .workgroup_processor_mode: 1
  - .args:
      - .offset:         0
        .size:           4
        .value_kind:     by_value
      - .offset:         4
        .size:           4
        .value_kind:     by_value
      - .offset:         8
        .size:           8
        .value_kind:     by_value
      - .actual_access:  read_only
        .address_space:  global
        .offset:         16
        .size:           8
        .value_kind:     global_buffer
      - .actual_access:  read_only
        .address_space:  global
        .offset:         24
        .size:           8
        .value_kind:     global_buffer
      - .actual_access:  read_only
        .address_space:  global
        .offset:         32
        .size:           8
        .value_kind:     global_buffer
      - .offset:         40
        .size:           4
        .value_kind:     by_value
      - .offset:         44
        .size:           4
        .value_kind:     by_value
      - .actual_access:  read_only
        .address_space:  global
        .offset:         48
        .size:           8
        .value_kind:     global_buffer
      - .offset:         56
        .size:           8
        .value_kind:     by_value
      - .address_space:  global
        .offset:         64
        .size:           8
        .value_kind:     global_buffer
      - .offset:         72
        .size:           4
        .value_kind:     by_value
      - .offset:         76
        .size:           1
        .value_kind:     by_value
    .group_segment_fixed_size: 480
    .kernarg_segment_align: 8
    .kernarg_segment_size: 80
    .language:       OpenCL C
    .language_version:
      - 2
      - 0
    .max_flat_workgroup_size: 60
    .name:           _ZN9rocsparseL22gebsrmvn_mxn_16_kernelILj60ELj15ELj1EdEEvi20rocsparse_direction_NS_24const_host_device_scalarIT2_EEPKiS6_PKS3_iiS8_S4_PS3_21rocsparse_index_base_b
    .private_segment_fixed_size: 0
    .sgpr_count:     18
    .sgpr_spill_count: 0
    .symbol:         _ZN9rocsparseL22gebsrmvn_mxn_16_kernelILj60ELj15ELj1EdEEvi20rocsparse_direction_NS_24const_host_device_scalarIT2_EEPKiS6_PKS3_iiS8_S4_PS3_21rocsparse_index_base_b.kd
    .uniform_work_group_size: 1
    .uses_dynamic_stack: false
    .vgpr_count:     14
    .vgpr_spill_count: 0
    .wavefront_size: 32
    .workgroup_processor_mode: 1
  - .args:
      - .offset:         0
        .size:           4
        .value_kind:     by_value
      - .offset:         4
        .size:           4
        .value_kind:     by_value
      - .offset:         8
        .size:           8
        .value_kind:     by_value
      - .actual_access:  read_only
        .address_space:  global
        .offset:         16
        .size:           8
        .value_kind:     global_buffer
      - .actual_access:  read_only
        .address_space:  global
        .offset:         24
        .size:           8
        .value_kind:     global_buffer
      - .actual_access:  read_only
        .address_space:  global
        .offset:         32
        .size:           8
        .value_kind:     global_buffer
      - .offset:         40
        .size:           4
        .value_kind:     by_value
      - .offset:         44
        .size:           4
        .value_kind:     by_value
      - .actual_access:  read_only
        .address_space:  global
        .offset:         48
        .size:           8
        .value_kind:     global_buffer
      - .offset:         56
        .size:           8
        .value_kind:     by_value
      - .address_space:  global
        .offset:         64
        .size:           8
        .value_kind:     global_buffer
      - .offset:         72
        .size:           4
        .value_kind:     by_value
      - .offset:         76
        .size:           1
        .value_kind:     by_value
    .group_segment_fixed_size: 480
    .kernarg_segment_align: 8
    .kernarg_segment_size: 80
    .language:       OpenCL C
    .language_version:
      - 2
      - 0
    .max_flat_workgroup_size: 60
    .name:           _ZN9rocsparseL22gebsrmvn_mxn_16_kernelILj60ELj15ELj2EdEEvi20rocsparse_direction_NS_24const_host_device_scalarIT2_EEPKiS6_PKS3_iiS8_S4_PS3_21rocsparse_index_base_b
    .private_segment_fixed_size: 0
    .sgpr_count:     18
    .sgpr_spill_count: 0
    .symbol:         _ZN9rocsparseL22gebsrmvn_mxn_16_kernelILj60ELj15ELj2EdEEvi20rocsparse_direction_NS_24const_host_device_scalarIT2_EEPKiS6_PKS3_iiS8_S4_PS3_21rocsparse_index_base_b.kd
    .uniform_work_group_size: 1
    .uses_dynamic_stack: false
    .vgpr_count:     16
    .vgpr_spill_count: 0
    .wavefront_size: 32
    .workgroup_processor_mode: 1
  - .args:
      - .offset:         0
        .size:           4
        .value_kind:     by_value
      - .offset:         4
        .size:           4
        .value_kind:     by_value
      - .offset:         8
        .size:           8
        .value_kind:     by_value
      - .actual_access:  read_only
        .address_space:  global
        .offset:         16
        .size:           8
        .value_kind:     global_buffer
      - .actual_access:  read_only
        .address_space:  global
        .offset:         24
        .size:           8
        .value_kind:     global_buffer
      - .actual_access:  read_only
        .address_space:  global
        .offset:         32
        .size:           8
        .value_kind:     global_buffer
      - .offset:         40
        .size:           4
        .value_kind:     by_value
      - .offset:         44
        .size:           4
        .value_kind:     by_value
      - .actual_access:  read_only
        .address_space:  global
        .offset:         48
        .size:           8
        .value_kind:     global_buffer
      - .offset:         56
        .size:           8
        .value_kind:     by_value
      - .address_space:  global
        .offset:         64
        .size:           8
        .value_kind:     global_buffer
      - .offset:         72
        .size:           4
        .value_kind:     by_value
      - .offset:         76
        .size:           1
        .value_kind:     by_value
    .group_segment_fixed_size: 360
    .kernarg_segment_align: 8
    .kernarg_segment_size: 80
    .language:       OpenCL C
    .language_version:
      - 2
      - 0
    .max_flat_workgroup_size: 45
    .name:           _ZN9rocsparseL22gebsrmvn_mxn_16_kernelILj45ELj15ELj3EdEEvi20rocsparse_direction_NS_24const_host_device_scalarIT2_EEPKiS6_PKS3_iiS8_S4_PS3_21rocsparse_index_base_b
    .private_segment_fixed_size: 0
    .sgpr_count:     18
    .sgpr_spill_count: 0
    .symbol:         _ZN9rocsparseL22gebsrmvn_mxn_16_kernelILj45ELj15ELj3EdEEvi20rocsparse_direction_NS_24const_host_device_scalarIT2_EEPKiS6_PKS3_iiS8_S4_PS3_21rocsparse_index_base_b.kd
    .uniform_work_group_size: 1
    .uses_dynamic_stack: false
    .vgpr_count:     16
    .vgpr_spill_count: 0
    .wavefront_size: 32
    .workgroup_processor_mode: 1
  - .args:
      - .offset:         0
        .size:           4
        .value_kind:     by_value
      - .offset:         4
        .size:           4
        .value_kind:     by_value
      - .offset:         8
        .size:           8
        .value_kind:     by_value
      - .actual_access:  read_only
        .address_space:  global
        .offset:         16
        .size:           8
        .value_kind:     global_buffer
      - .actual_access:  read_only
        .address_space:  global
        .offset:         24
        .size:           8
        .value_kind:     global_buffer
      - .actual_access:  read_only
        .address_space:  global
        .offset:         32
        .size:           8
        .value_kind:     global_buffer
      - .offset:         40
        .size:           4
        .value_kind:     by_value
      - .offset:         44
        .size:           4
        .value_kind:     by_value
      - .actual_access:  read_only
        .address_space:  global
        .offset:         48
        .size:           8
        .value_kind:     global_buffer
      - .offset:         56
        .size:           8
        .value_kind:     by_value
      - .address_space:  global
        .offset:         64
        .size:           8
        .value_kind:     global_buffer
      - .offset:         72
        .size:           4
        .value_kind:     by_value
      - .offset:         76
        .size:           1
        .value_kind:     by_value
    .group_segment_fixed_size: 480
    .kernarg_segment_align: 8
    .kernarg_segment_size: 80
    .language:       OpenCL C
    .language_version:
      - 2
      - 0
    .max_flat_workgroup_size: 60
    .name:           _ZN9rocsparseL22gebsrmvn_mxn_16_kernelILj60ELj15ELj4EdEEvi20rocsparse_direction_NS_24const_host_device_scalarIT2_EEPKiS6_PKS3_iiS8_S4_PS3_21rocsparse_index_base_b
    .private_segment_fixed_size: 0
    .sgpr_count:     18
    .sgpr_spill_count: 0
    .symbol:         _ZN9rocsparseL22gebsrmvn_mxn_16_kernelILj60ELj15ELj4EdEEvi20rocsparse_direction_NS_24const_host_device_scalarIT2_EEPKiS6_PKS3_iiS8_S4_PS3_21rocsparse_index_base_b.kd
    .uniform_work_group_size: 1
    .uses_dynamic_stack: false
    .vgpr_count:     16
    .vgpr_spill_count: 0
    .wavefront_size: 32
    .workgroup_processor_mode: 1
  - .args:
      - .offset:         0
        .size:           4
        .value_kind:     by_value
      - .offset:         4
        .size:           4
        .value_kind:     by_value
      - .offset:         8
        .size:           8
        .value_kind:     by_value
      - .actual_access:  read_only
        .address_space:  global
        .offset:         16
        .size:           8
        .value_kind:     global_buffer
      - .actual_access:  read_only
        .address_space:  global
        .offset:         24
        .size:           8
        .value_kind:     global_buffer
      - .actual_access:  read_only
        .address_space:  global
        .offset:         32
        .size:           8
        .value_kind:     global_buffer
      - .offset:         40
        .size:           4
        .value_kind:     by_value
      - .offset:         44
        .size:           4
        .value_kind:     by_value
      - .actual_access:  read_only
        .address_space:  global
        .offset:         48
        .size:           8
        .value_kind:     global_buffer
      - .offset:         56
        .size:           8
        .value_kind:     by_value
      - .address_space:  global
        .offset:         64
        .size:           8
        .value_kind:     global_buffer
      - .offset:         72
        .size:           4
        .value_kind:     by_value
      - .offset:         76
        .size:           1
        .value_kind:     by_value
    .group_segment_fixed_size: 600
    .kernarg_segment_align: 8
    .kernarg_segment_size: 80
    .language:       OpenCL C
    .language_version:
      - 2
      - 0
    .max_flat_workgroup_size: 75
    .name:           _ZN9rocsparseL22gebsrmvn_mxn_16_kernelILj75ELj15ELj5EdEEvi20rocsparse_direction_NS_24const_host_device_scalarIT2_EEPKiS6_PKS3_iiS8_S4_PS3_21rocsparse_index_base_b
    .private_segment_fixed_size: 0
    .sgpr_count:     18
    .sgpr_spill_count: 0
    .symbol:         _ZN9rocsparseL22gebsrmvn_mxn_16_kernelILj75ELj15ELj5EdEEvi20rocsparse_direction_NS_24const_host_device_scalarIT2_EEPKiS6_PKS3_iiS8_S4_PS3_21rocsparse_index_base_b.kd
    .uniform_work_group_size: 1
    .uses_dynamic_stack: false
    .vgpr_count:     17
    .vgpr_spill_count: 0
    .wavefront_size: 32
    .workgroup_processor_mode: 1
  - .args:
      - .offset:         0
        .size:           4
        .value_kind:     by_value
      - .offset:         4
        .size:           4
        .value_kind:     by_value
      - .offset:         8
        .size:           8
        .value_kind:     by_value
      - .actual_access:  read_only
        .address_space:  global
        .offset:         16
        .size:           8
        .value_kind:     global_buffer
      - .actual_access:  read_only
        .address_space:  global
        .offset:         24
        .size:           8
        .value_kind:     global_buffer
      - .actual_access:  read_only
        .address_space:  global
        .offset:         32
        .size:           8
        .value_kind:     global_buffer
      - .offset:         40
        .size:           4
        .value_kind:     by_value
      - .offset:         44
        .size:           4
        .value_kind:     by_value
      - .actual_access:  read_only
        .address_space:  global
        .offset:         48
        .size:           8
        .value_kind:     global_buffer
      - .offset:         56
        .size:           8
        .value_kind:     by_value
      - .address_space:  global
        .offset:         64
        .size:           8
        .value_kind:     global_buffer
      - .offset:         72
        .size:           4
        .value_kind:     by_value
      - .offset:         76
        .size:           1
        .value_kind:     by_value
    .group_segment_fixed_size: 720
    .kernarg_segment_align: 8
    .kernarg_segment_size: 80
    .language:       OpenCL C
    .language_version:
      - 2
      - 0
    .max_flat_workgroup_size: 90
    .name:           _ZN9rocsparseL22gebsrmvn_mxn_16_kernelILj90ELj15ELj6EdEEvi20rocsparse_direction_NS_24const_host_device_scalarIT2_EEPKiS6_PKS3_iiS8_S4_PS3_21rocsparse_index_base_b
    .private_segment_fixed_size: 0
    .sgpr_count:     18
    .sgpr_spill_count: 0
    .symbol:         _ZN9rocsparseL22gebsrmvn_mxn_16_kernelILj90ELj15ELj6EdEEvi20rocsparse_direction_NS_24const_host_device_scalarIT2_EEPKiS6_PKS3_iiS8_S4_PS3_21rocsparse_index_base_b.kd
    .uniform_work_group_size: 1
    .uses_dynamic_stack: false
    .vgpr_count:     17
    .vgpr_spill_count: 0
    .wavefront_size: 32
    .workgroup_processor_mode: 1
  - .args:
      - .offset:         0
        .size:           4
        .value_kind:     by_value
      - .offset:         4
        .size:           4
        .value_kind:     by_value
      - .offset:         8
        .size:           8
        .value_kind:     by_value
      - .actual_access:  read_only
        .address_space:  global
        .offset:         16
        .size:           8
        .value_kind:     global_buffer
      - .actual_access:  read_only
        .address_space:  global
        .offset:         24
        .size:           8
        .value_kind:     global_buffer
      - .actual_access:  read_only
        .address_space:  global
        .offset:         32
        .size:           8
        .value_kind:     global_buffer
      - .offset:         40
        .size:           4
        .value_kind:     by_value
      - .offset:         44
        .size:           4
        .value_kind:     by_value
      - .actual_access:  read_only
        .address_space:  global
        .offset:         48
        .size:           8
        .value_kind:     global_buffer
      - .offset:         56
        .size:           8
        .value_kind:     by_value
      - .address_space:  global
        .offset:         64
        .size:           8
        .value_kind:     global_buffer
      - .offset:         72
        .size:           4
        .value_kind:     by_value
      - .offset:         76
        .size:           1
        .value_kind:     by_value
    .group_segment_fixed_size: 840
    .kernarg_segment_align: 8
    .kernarg_segment_size: 80
    .language:       OpenCL C
    .language_version:
      - 2
      - 0
    .max_flat_workgroup_size: 105
    .name:           _ZN9rocsparseL22gebsrmvn_mxn_16_kernelILj105ELj15ELj7EdEEvi20rocsparse_direction_NS_24const_host_device_scalarIT2_EEPKiS6_PKS3_iiS8_S4_PS3_21rocsparse_index_base_b
    .private_segment_fixed_size: 0
    .sgpr_count:     18
    .sgpr_spill_count: 0
    .symbol:         _ZN9rocsparseL22gebsrmvn_mxn_16_kernelILj105ELj15ELj7EdEEvi20rocsparse_direction_NS_24const_host_device_scalarIT2_EEPKiS6_PKS3_iiS8_S4_PS3_21rocsparse_index_base_b.kd
    .uniform_work_group_size: 1
    .uses_dynamic_stack: false
    .vgpr_count:     17
    .vgpr_spill_count: 0
    .wavefront_size: 32
    .workgroup_processor_mode: 1
  - .args:
      - .offset:         0
        .size:           4
        .value_kind:     by_value
      - .offset:         4
        .size:           4
        .value_kind:     by_value
      - .offset:         8
        .size:           8
        .value_kind:     by_value
      - .actual_access:  read_only
        .address_space:  global
        .offset:         16
        .size:           8
        .value_kind:     global_buffer
      - .actual_access:  read_only
        .address_space:  global
        .offset:         24
        .size:           8
        .value_kind:     global_buffer
      - .actual_access:  read_only
        .address_space:  global
        .offset:         32
        .size:           8
        .value_kind:     global_buffer
      - .offset:         40
        .size:           4
        .value_kind:     by_value
      - .offset:         44
        .size:           4
        .value_kind:     by_value
      - .actual_access:  read_only
        .address_space:  global
        .offset:         48
        .size:           8
        .value_kind:     global_buffer
      - .offset:         56
        .size:           8
        .value_kind:     by_value
      - .address_space:  global
        .offset:         64
        .size:           8
        .value_kind:     global_buffer
      - .offset:         72
        .size:           4
        .value_kind:     by_value
      - .offset:         76
        .size:           1
        .value_kind:     by_value
    .group_segment_fixed_size: 960
    .kernarg_segment_align: 8
    .kernarg_segment_size: 80
    .language:       OpenCL C
    .language_version:
      - 2
      - 0
    .max_flat_workgroup_size: 120
    .name:           _ZN9rocsparseL22gebsrmvn_mxn_16_kernelILj120ELj15ELj8EdEEvi20rocsparse_direction_NS_24const_host_device_scalarIT2_EEPKiS6_PKS3_iiS8_S4_PS3_21rocsparse_index_base_b
    .private_segment_fixed_size: 0
    .sgpr_count:     18
    .sgpr_spill_count: 0
    .symbol:         _ZN9rocsparseL22gebsrmvn_mxn_16_kernelILj120ELj15ELj8EdEEvi20rocsparse_direction_NS_24const_host_device_scalarIT2_EEPKiS6_PKS3_iiS8_S4_PS3_21rocsparse_index_base_b.kd
    .uniform_work_group_size: 1
    .uses_dynamic_stack: false
    .vgpr_count:     16
    .vgpr_spill_count: 0
    .wavefront_size: 32
    .workgroup_processor_mode: 1
  - .args:
      - .offset:         0
        .size:           4
        .value_kind:     by_value
      - .offset:         4
        .size:           4
        .value_kind:     by_value
      - .offset:         8
        .size:           8
        .value_kind:     by_value
      - .actual_access:  read_only
        .address_space:  global
        .offset:         16
        .size:           8
        .value_kind:     global_buffer
      - .actual_access:  read_only
        .address_space:  global
        .offset:         24
        .size:           8
        .value_kind:     global_buffer
      - .actual_access:  read_only
        .address_space:  global
        .offset:         32
        .size:           8
        .value_kind:     global_buffer
      - .offset:         40
        .size:           4
        .value_kind:     by_value
      - .offset:         44
        .size:           4
        .value_kind:     by_value
      - .actual_access:  read_only
        .address_space:  global
        .offset:         48
        .size:           8
        .value_kind:     global_buffer
      - .offset:         56
        .size:           8
        .value_kind:     by_value
      - .address_space:  global
        .offset:         64
        .size:           8
        .value_kind:     global_buffer
      - .offset:         72
        .size:           4
        .value_kind:     by_value
      - .offset:         76
        .size:           1
        .value_kind:     by_value
    .group_segment_fixed_size: 512
    .kernarg_segment_align: 8
    .kernarg_segment_size: 80
    .language:       OpenCL C
    .language_version:
      - 2
      - 0
    .max_flat_workgroup_size: 64
    .name:           _ZN9rocsparseL22gebsrmvn_mxn_16_kernelILj64ELj16ELj1EdEEvi20rocsparse_direction_NS_24const_host_device_scalarIT2_EEPKiS6_PKS3_iiS8_S4_PS3_21rocsparse_index_base_b
    .private_segment_fixed_size: 0
    .sgpr_count:     18
    .sgpr_spill_count: 0
    .symbol:         _ZN9rocsparseL22gebsrmvn_mxn_16_kernelILj64ELj16ELj1EdEEvi20rocsparse_direction_NS_24const_host_device_scalarIT2_EEPKiS6_PKS3_iiS8_S4_PS3_21rocsparse_index_base_b.kd
    .uniform_work_group_size: 1
    .uses_dynamic_stack: false
    .vgpr_count:     14
    .vgpr_spill_count: 0
    .wavefront_size: 32
    .workgroup_processor_mode: 1
  - .args:
      - .offset:         0
        .size:           4
        .value_kind:     by_value
      - .offset:         4
        .size:           4
        .value_kind:     by_value
      - .offset:         8
        .size:           8
        .value_kind:     by_value
      - .actual_access:  read_only
        .address_space:  global
        .offset:         16
        .size:           8
        .value_kind:     global_buffer
      - .actual_access:  read_only
        .address_space:  global
        .offset:         24
        .size:           8
        .value_kind:     global_buffer
      - .actual_access:  read_only
        .address_space:  global
        .offset:         32
        .size:           8
        .value_kind:     global_buffer
      - .offset:         40
        .size:           4
        .value_kind:     by_value
      - .offset:         44
        .size:           4
        .value_kind:     by_value
      - .actual_access:  read_only
        .address_space:  global
        .offset:         48
        .size:           8
        .value_kind:     global_buffer
      - .offset:         56
        .size:           8
        .value_kind:     by_value
      - .address_space:  global
        .offset:         64
        .size:           8
        .value_kind:     global_buffer
      - .offset:         72
        .size:           4
        .value_kind:     by_value
      - .offset:         76
        .size:           1
        .value_kind:     by_value
    .group_segment_fixed_size: 512
    .kernarg_segment_align: 8
    .kernarg_segment_size: 80
    .language:       OpenCL C
    .language_version:
      - 2
      - 0
    .max_flat_workgroup_size: 64
    .name:           _ZN9rocsparseL22gebsrmvn_mxn_16_kernelILj64ELj16ELj2EdEEvi20rocsparse_direction_NS_24const_host_device_scalarIT2_EEPKiS6_PKS3_iiS8_S4_PS3_21rocsparse_index_base_b
    .private_segment_fixed_size: 0
    .sgpr_count:     18
    .sgpr_spill_count: 0
    .symbol:         _ZN9rocsparseL22gebsrmvn_mxn_16_kernelILj64ELj16ELj2EdEEvi20rocsparse_direction_NS_24const_host_device_scalarIT2_EEPKiS6_PKS3_iiS8_S4_PS3_21rocsparse_index_base_b.kd
    .uniform_work_group_size: 1
    .uses_dynamic_stack: false
    .vgpr_count:     16
    .vgpr_spill_count: 0
    .wavefront_size: 32
    .workgroup_processor_mode: 1
  - .args:
      - .offset:         0
        .size:           4
        .value_kind:     by_value
      - .offset:         4
        .size:           4
        .value_kind:     by_value
      - .offset:         8
        .size:           8
        .value_kind:     by_value
      - .actual_access:  read_only
        .address_space:  global
        .offset:         16
        .size:           8
        .value_kind:     global_buffer
      - .actual_access:  read_only
        .address_space:  global
        .offset:         24
        .size:           8
        .value_kind:     global_buffer
      - .actual_access:  read_only
        .address_space:  global
        .offset:         32
        .size:           8
        .value_kind:     global_buffer
      - .offset:         40
        .size:           4
        .value_kind:     by_value
      - .offset:         44
        .size:           4
        .value_kind:     by_value
      - .actual_access:  read_only
        .address_space:  global
        .offset:         48
        .size:           8
        .value_kind:     global_buffer
      - .offset:         56
        .size:           8
        .value_kind:     by_value
      - .address_space:  global
        .offset:         64
        .size:           8
        .value_kind:     global_buffer
      - .offset:         72
        .size:           4
        .value_kind:     by_value
      - .offset:         76
        .size:           1
        .value_kind:     by_value
    .group_segment_fixed_size: 384
    .kernarg_segment_align: 8
    .kernarg_segment_size: 80
    .language:       OpenCL C
    .language_version:
      - 2
      - 0
    .max_flat_workgroup_size: 48
    .name:           _ZN9rocsparseL22gebsrmvn_mxn_16_kernelILj48ELj16ELj3EdEEvi20rocsparse_direction_NS_24const_host_device_scalarIT2_EEPKiS6_PKS3_iiS8_S4_PS3_21rocsparse_index_base_b
    .private_segment_fixed_size: 0
    .sgpr_count:     18
    .sgpr_spill_count: 0
    .symbol:         _ZN9rocsparseL22gebsrmvn_mxn_16_kernelILj48ELj16ELj3EdEEvi20rocsparse_direction_NS_24const_host_device_scalarIT2_EEPKiS6_PKS3_iiS8_S4_PS3_21rocsparse_index_base_b.kd
    .uniform_work_group_size: 1
    .uses_dynamic_stack: false
    .vgpr_count:     16
    .vgpr_spill_count: 0
    .wavefront_size: 32
    .workgroup_processor_mode: 1
  - .args:
      - .offset:         0
        .size:           4
        .value_kind:     by_value
      - .offset:         4
        .size:           4
        .value_kind:     by_value
      - .offset:         8
        .size:           8
        .value_kind:     by_value
      - .actual_access:  read_only
        .address_space:  global
        .offset:         16
        .size:           8
        .value_kind:     global_buffer
      - .actual_access:  read_only
        .address_space:  global
        .offset:         24
        .size:           8
        .value_kind:     global_buffer
      - .actual_access:  read_only
        .address_space:  global
        .offset:         32
        .size:           8
        .value_kind:     global_buffer
      - .offset:         40
        .size:           4
        .value_kind:     by_value
      - .offset:         44
        .size:           4
        .value_kind:     by_value
      - .actual_access:  read_only
        .address_space:  global
        .offset:         48
        .size:           8
        .value_kind:     global_buffer
      - .offset:         56
        .size:           8
        .value_kind:     by_value
      - .address_space:  global
        .offset:         64
        .size:           8
        .value_kind:     global_buffer
      - .offset:         72
        .size:           4
        .value_kind:     by_value
      - .offset:         76
        .size:           1
        .value_kind:     by_value
    .group_segment_fixed_size: 512
    .kernarg_segment_align: 8
    .kernarg_segment_size: 80
    .language:       OpenCL C
    .language_version:
      - 2
      - 0
    .max_flat_workgroup_size: 64
    .name:           _ZN9rocsparseL22gebsrmvn_mxn_16_kernelILj64ELj16ELj4EdEEvi20rocsparse_direction_NS_24const_host_device_scalarIT2_EEPKiS6_PKS3_iiS8_S4_PS3_21rocsparse_index_base_b
    .private_segment_fixed_size: 0
    .sgpr_count:     18
    .sgpr_spill_count: 0
    .symbol:         _ZN9rocsparseL22gebsrmvn_mxn_16_kernelILj64ELj16ELj4EdEEvi20rocsparse_direction_NS_24const_host_device_scalarIT2_EEPKiS6_PKS3_iiS8_S4_PS3_21rocsparse_index_base_b.kd
    .uniform_work_group_size: 1
    .uses_dynamic_stack: false
    .vgpr_count:     15
    .vgpr_spill_count: 0
    .wavefront_size: 32
    .workgroup_processor_mode: 1
  - .args:
      - .offset:         0
        .size:           4
        .value_kind:     by_value
      - .offset:         4
        .size:           4
        .value_kind:     by_value
      - .offset:         8
        .size:           8
        .value_kind:     by_value
      - .actual_access:  read_only
        .address_space:  global
        .offset:         16
        .size:           8
        .value_kind:     global_buffer
      - .actual_access:  read_only
        .address_space:  global
        .offset:         24
        .size:           8
        .value_kind:     global_buffer
      - .actual_access:  read_only
        .address_space:  global
        .offset:         32
        .size:           8
        .value_kind:     global_buffer
      - .offset:         40
        .size:           4
        .value_kind:     by_value
      - .offset:         44
        .size:           4
        .value_kind:     by_value
      - .actual_access:  read_only
        .address_space:  global
        .offset:         48
        .size:           8
        .value_kind:     global_buffer
      - .offset:         56
        .size:           8
        .value_kind:     by_value
      - .address_space:  global
        .offset:         64
        .size:           8
        .value_kind:     global_buffer
      - .offset:         72
        .size:           4
        .value_kind:     by_value
      - .offset:         76
        .size:           1
        .value_kind:     by_value
    .group_segment_fixed_size: 640
    .kernarg_segment_align: 8
    .kernarg_segment_size: 80
    .language:       OpenCL C
    .language_version:
      - 2
      - 0
    .max_flat_workgroup_size: 80
    .name:           _ZN9rocsparseL22gebsrmvn_mxn_16_kernelILj80ELj16ELj5EdEEvi20rocsparse_direction_NS_24const_host_device_scalarIT2_EEPKiS6_PKS3_iiS8_S4_PS3_21rocsparse_index_base_b
    .private_segment_fixed_size: 0
    .sgpr_count:     18
    .sgpr_spill_count: 0
    .symbol:         _ZN9rocsparseL22gebsrmvn_mxn_16_kernelILj80ELj16ELj5EdEEvi20rocsparse_direction_NS_24const_host_device_scalarIT2_EEPKiS6_PKS3_iiS8_S4_PS3_21rocsparse_index_base_b.kd
    .uniform_work_group_size: 1
    .uses_dynamic_stack: false
    .vgpr_count:     17
    .vgpr_spill_count: 0
    .wavefront_size: 32
    .workgroup_processor_mode: 1
  - .args:
      - .offset:         0
        .size:           4
        .value_kind:     by_value
      - .offset:         4
        .size:           4
        .value_kind:     by_value
      - .offset:         8
        .size:           8
        .value_kind:     by_value
      - .actual_access:  read_only
        .address_space:  global
        .offset:         16
        .size:           8
        .value_kind:     global_buffer
      - .actual_access:  read_only
        .address_space:  global
        .offset:         24
        .size:           8
        .value_kind:     global_buffer
      - .actual_access:  read_only
        .address_space:  global
        .offset:         32
        .size:           8
        .value_kind:     global_buffer
      - .offset:         40
        .size:           4
        .value_kind:     by_value
      - .offset:         44
        .size:           4
        .value_kind:     by_value
      - .actual_access:  read_only
        .address_space:  global
        .offset:         48
        .size:           8
        .value_kind:     global_buffer
      - .offset:         56
        .size:           8
        .value_kind:     by_value
      - .address_space:  global
        .offset:         64
        .size:           8
        .value_kind:     global_buffer
      - .offset:         72
        .size:           4
        .value_kind:     by_value
      - .offset:         76
        .size:           1
        .value_kind:     by_value
    .group_segment_fixed_size: 768
    .kernarg_segment_align: 8
    .kernarg_segment_size: 80
    .language:       OpenCL C
    .language_version:
      - 2
      - 0
    .max_flat_workgroup_size: 96
    .name:           _ZN9rocsparseL22gebsrmvn_mxn_16_kernelILj96ELj16ELj6EdEEvi20rocsparse_direction_NS_24const_host_device_scalarIT2_EEPKiS6_PKS3_iiS8_S4_PS3_21rocsparse_index_base_b
    .private_segment_fixed_size: 0
    .sgpr_count:     18
    .sgpr_spill_count: 0
    .symbol:         _ZN9rocsparseL22gebsrmvn_mxn_16_kernelILj96ELj16ELj6EdEEvi20rocsparse_direction_NS_24const_host_device_scalarIT2_EEPKiS6_PKS3_iiS8_S4_PS3_21rocsparse_index_base_b.kd
    .uniform_work_group_size: 1
    .uses_dynamic_stack: false
    .vgpr_count:     17
    .vgpr_spill_count: 0
    .wavefront_size: 32
    .workgroup_processor_mode: 1
  - .args:
      - .offset:         0
        .size:           4
        .value_kind:     by_value
      - .offset:         4
        .size:           4
        .value_kind:     by_value
      - .offset:         8
        .size:           8
        .value_kind:     by_value
      - .actual_access:  read_only
        .address_space:  global
        .offset:         16
        .size:           8
        .value_kind:     global_buffer
      - .actual_access:  read_only
        .address_space:  global
        .offset:         24
        .size:           8
        .value_kind:     global_buffer
      - .actual_access:  read_only
        .address_space:  global
        .offset:         32
        .size:           8
        .value_kind:     global_buffer
      - .offset:         40
        .size:           4
        .value_kind:     by_value
      - .offset:         44
        .size:           4
        .value_kind:     by_value
      - .actual_access:  read_only
        .address_space:  global
        .offset:         48
        .size:           8
        .value_kind:     global_buffer
      - .offset:         56
        .size:           8
        .value_kind:     by_value
      - .address_space:  global
        .offset:         64
        .size:           8
        .value_kind:     global_buffer
      - .offset:         72
        .size:           4
        .value_kind:     by_value
      - .offset:         76
        .size:           1
        .value_kind:     by_value
    .group_segment_fixed_size: 896
    .kernarg_segment_align: 8
    .kernarg_segment_size: 80
    .language:       OpenCL C
    .language_version:
      - 2
      - 0
    .max_flat_workgroup_size: 112
    .name:           _ZN9rocsparseL22gebsrmvn_mxn_16_kernelILj112ELj16ELj7EdEEvi20rocsparse_direction_NS_24const_host_device_scalarIT2_EEPKiS6_PKS3_iiS8_S4_PS3_21rocsparse_index_base_b
    .private_segment_fixed_size: 0
    .sgpr_count:     18
    .sgpr_spill_count: 0
    .symbol:         _ZN9rocsparseL22gebsrmvn_mxn_16_kernelILj112ELj16ELj7EdEEvi20rocsparse_direction_NS_24const_host_device_scalarIT2_EEPKiS6_PKS3_iiS8_S4_PS3_21rocsparse_index_base_b.kd
    .uniform_work_group_size: 1
    .uses_dynamic_stack: false
    .vgpr_count:     17
    .vgpr_spill_count: 0
    .wavefront_size: 32
    .workgroup_processor_mode: 1
  - .args:
      - .offset:         0
        .size:           4
        .value_kind:     by_value
      - .offset:         4
        .size:           4
        .value_kind:     by_value
      - .offset:         8
        .size:           8
        .value_kind:     by_value
      - .actual_access:  read_only
        .address_space:  global
        .offset:         16
        .size:           8
        .value_kind:     global_buffer
      - .actual_access:  read_only
        .address_space:  global
        .offset:         24
        .size:           8
        .value_kind:     global_buffer
      - .actual_access:  read_only
        .address_space:  global
        .offset:         32
        .size:           8
        .value_kind:     global_buffer
      - .offset:         40
        .size:           4
        .value_kind:     by_value
      - .offset:         44
        .size:           4
        .value_kind:     by_value
      - .actual_access:  read_only
        .address_space:  global
        .offset:         48
        .size:           8
        .value_kind:     global_buffer
      - .offset:         56
        .size:           8
        .value_kind:     by_value
      - .address_space:  global
        .offset:         64
        .size:           8
        .value_kind:     global_buffer
      - .offset:         72
        .size:           4
        .value_kind:     by_value
      - .offset:         76
        .size:           1
        .value_kind:     by_value
    .group_segment_fixed_size: 1024
    .kernarg_segment_align: 8
    .kernarg_segment_size: 80
    .language:       OpenCL C
    .language_version:
      - 2
      - 0
    .max_flat_workgroup_size: 128
    .name:           _ZN9rocsparseL22gebsrmvn_mxn_16_kernelILj128ELj16ELj8EdEEvi20rocsparse_direction_NS_24const_host_device_scalarIT2_EEPKiS6_PKS3_iiS8_S4_PS3_21rocsparse_index_base_b
    .private_segment_fixed_size: 0
    .sgpr_count:     18
    .sgpr_spill_count: 0
    .symbol:         _ZN9rocsparseL22gebsrmvn_mxn_16_kernelILj128ELj16ELj8EdEEvi20rocsparse_direction_NS_24const_host_device_scalarIT2_EEPKiS6_PKS3_iiS8_S4_PS3_21rocsparse_index_base_b.kd
    .uniform_work_group_size: 1
    .uses_dynamic_stack: false
    .vgpr_count:     15
    .vgpr_spill_count: 0
    .wavefront_size: 32
    .workgroup_processor_mode: 1
  - .args:
      - .offset:         0
        .size:           4
        .value_kind:     by_value
      - .offset:         4
        .size:           4
        .value_kind:     by_value
      - .offset:         8
        .size:           8
        .value_kind:     by_value
      - .actual_access:  read_only
        .address_space:  global
        .offset:         16
        .size:           8
        .value_kind:     global_buffer
      - .actual_access:  read_only
        .address_space:  global
        .offset:         24
        .size:           8
        .value_kind:     global_buffer
      - .actual_access:  read_only
        .address_space:  global
        .offset:         32
        .size:           8
        .value_kind:     global_buffer
      - .offset:         40
        .size:           4
        .value_kind:     by_value
      - .offset:         44
        .size:           4
        .value_kind:     by_value
      - .actual_access:  read_only
        .address_space:  global
        .offset:         48
        .size:           8
        .value_kind:     global_buffer
      - .offset:         56
        .size:           8
        .value_kind:     by_value
      - .address_space:  global
        .offset:         64
        .size:           8
        .value_kind:     global_buffer
      - .offset:         72
        .size:           4
        .value_kind:     by_value
      - .offset:         76
        .size:           1
        .value_kind:     by_value
    .group_segment_fixed_size: 416
    .kernarg_segment_align: 8
    .kernarg_segment_size: 80
    .language:       OpenCL C
    .language_version:
      - 2
      - 0
    .max_flat_workgroup_size: 52
    .name:           _ZN9rocsparseL22gebsrmvn_mxn_16_kernelILj52ELj13ELj1E21rocsparse_complex_numIfEEEvi20rocsparse_direction_NS_24const_host_device_scalarIT2_EEPKiS8_PKS5_iiSA_S6_PS5_21rocsparse_index_base_b
    .private_segment_fixed_size: 0
    .sgpr_count:     18
    .sgpr_spill_count: 0
    .symbol:         _ZN9rocsparseL22gebsrmvn_mxn_16_kernelILj52ELj13ELj1E21rocsparse_complex_numIfEEEvi20rocsparse_direction_NS_24const_host_device_scalarIT2_EEPKiS8_PKS5_iiSA_S6_PS5_21rocsparse_index_base_b.kd
    .uniform_work_group_size: 1
    .uses_dynamic_stack: false
    .vgpr_count:     15
    .vgpr_spill_count: 0
    .wavefront_size: 32
    .workgroup_processor_mode: 1
  - .args:
      - .offset:         0
        .size:           4
        .value_kind:     by_value
      - .offset:         4
        .size:           4
        .value_kind:     by_value
      - .offset:         8
        .size:           8
        .value_kind:     by_value
      - .actual_access:  read_only
        .address_space:  global
        .offset:         16
        .size:           8
        .value_kind:     global_buffer
      - .actual_access:  read_only
        .address_space:  global
        .offset:         24
        .size:           8
        .value_kind:     global_buffer
      - .actual_access:  read_only
        .address_space:  global
        .offset:         32
        .size:           8
        .value_kind:     global_buffer
      - .offset:         40
        .size:           4
        .value_kind:     by_value
      - .offset:         44
        .size:           4
        .value_kind:     by_value
      - .actual_access:  read_only
        .address_space:  global
        .offset:         48
        .size:           8
        .value_kind:     global_buffer
      - .offset:         56
        .size:           8
        .value_kind:     by_value
      - .address_space:  global
        .offset:         64
        .size:           8
        .value_kind:     global_buffer
      - .offset:         72
        .size:           4
        .value_kind:     by_value
      - .offset:         76
        .size:           1
        .value_kind:     by_value
    .group_segment_fixed_size: 416
    .kernarg_segment_align: 8
    .kernarg_segment_size: 80
    .language:       OpenCL C
    .language_version:
      - 2
      - 0
    .max_flat_workgroup_size: 52
    .name:           _ZN9rocsparseL22gebsrmvn_mxn_16_kernelILj52ELj13ELj2E21rocsparse_complex_numIfEEEvi20rocsparse_direction_NS_24const_host_device_scalarIT2_EEPKiS8_PKS5_iiSA_S6_PS5_21rocsparse_index_base_b
    .private_segment_fixed_size: 0
    .sgpr_count:     18
    .sgpr_spill_count: 0
    .symbol:         _ZN9rocsparseL22gebsrmvn_mxn_16_kernelILj52ELj13ELj2E21rocsparse_complex_numIfEEEvi20rocsparse_direction_NS_24const_host_device_scalarIT2_EEPKiS8_PKS5_iiSA_S6_PS5_21rocsparse_index_base_b.kd
    .uniform_work_group_size: 1
    .uses_dynamic_stack: false
    .vgpr_count:     16
    .vgpr_spill_count: 0
    .wavefront_size: 32
    .workgroup_processor_mode: 1
  - .args:
      - .offset:         0
        .size:           4
        .value_kind:     by_value
      - .offset:         4
        .size:           4
        .value_kind:     by_value
      - .offset:         8
        .size:           8
        .value_kind:     by_value
      - .actual_access:  read_only
        .address_space:  global
        .offset:         16
        .size:           8
        .value_kind:     global_buffer
      - .actual_access:  read_only
        .address_space:  global
        .offset:         24
        .size:           8
        .value_kind:     global_buffer
      - .actual_access:  read_only
        .address_space:  global
        .offset:         32
        .size:           8
        .value_kind:     global_buffer
      - .offset:         40
        .size:           4
        .value_kind:     by_value
      - .offset:         44
        .size:           4
        .value_kind:     by_value
      - .actual_access:  read_only
        .address_space:  global
        .offset:         48
        .size:           8
        .value_kind:     global_buffer
      - .offset:         56
        .size:           8
        .value_kind:     by_value
      - .address_space:  global
        .offset:         64
        .size:           8
        .value_kind:     global_buffer
      - .offset:         72
        .size:           4
        .value_kind:     by_value
      - .offset:         76
        .size:           1
        .value_kind:     by_value
    .group_segment_fixed_size: 312
    .kernarg_segment_align: 8
    .kernarg_segment_size: 80
    .language:       OpenCL C
    .language_version:
      - 2
      - 0
    .max_flat_workgroup_size: 39
    .name:           _ZN9rocsparseL22gebsrmvn_mxn_16_kernelILj39ELj13ELj3E21rocsparse_complex_numIfEEEvi20rocsparse_direction_NS_24const_host_device_scalarIT2_EEPKiS8_PKS5_iiSA_S6_PS5_21rocsparse_index_base_b
    .private_segment_fixed_size: 0
    .sgpr_count:     18
    .sgpr_spill_count: 0
    .symbol:         _ZN9rocsparseL22gebsrmvn_mxn_16_kernelILj39ELj13ELj3E21rocsparse_complex_numIfEEEvi20rocsparse_direction_NS_24const_host_device_scalarIT2_EEPKiS8_PKS5_iiSA_S6_PS5_21rocsparse_index_base_b.kd
    .uniform_work_group_size: 1
    .uses_dynamic_stack: false
    .vgpr_count:     16
    .vgpr_spill_count: 0
    .wavefront_size: 32
    .workgroup_processor_mode: 1
  - .args:
      - .offset:         0
        .size:           4
        .value_kind:     by_value
      - .offset:         4
        .size:           4
        .value_kind:     by_value
      - .offset:         8
        .size:           8
        .value_kind:     by_value
      - .actual_access:  read_only
        .address_space:  global
        .offset:         16
        .size:           8
        .value_kind:     global_buffer
      - .actual_access:  read_only
        .address_space:  global
        .offset:         24
        .size:           8
        .value_kind:     global_buffer
      - .actual_access:  read_only
        .address_space:  global
        .offset:         32
        .size:           8
        .value_kind:     global_buffer
      - .offset:         40
        .size:           4
        .value_kind:     by_value
      - .offset:         44
        .size:           4
        .value_kind:     by_value
      - .actual_access:  read_only
        .address_space:  global
        .offset:         48
        .size:           8
        .value_kind:     global_buffer
      - .offset:         56
        .size:           8
        .value_kind:     by_value
      - .address_space:  global
        .offset:         64
        .size:           8
        .value_kind:     global_buffer
      - .offset:         72
        .size:           4
        .value_kind:     by_value
      - .offset:         76
        .size:           1
        .value_kind:     by_value
    .group_segment_fixed_size: 416
    .kernarg_segment_align: 8
    .kernarg_segment_size: 80
    .language:       OpenCL C
    .language_version:
      - 2
      - 0
    .max_flat_workgroup_size: 52
    .name:           _ZN9rocsparseL22gebsrmvn_mxn_16_kernelILj52ELj13ELj4E21rocsparse_complex_numIfEEEvi20rocsparse_direction_NS_24const_host_device_scalarIT2_EEPKiS8_PKS5_iiSA_S6_PS5_21rocsparse_index_base_b
    .private_segment_fixed_size: 0
    .sgpr_count:     18
    .sgpr_spill_count: 0
    .symbol:         _ZN9rocsparseL22gebsrmvn_mxn_16_kernelILj52ELj13ELj4E21rocsparse_complex_numIfEEEvi20rocsparse_direction_NS_24const_host_device_scalarIT2_EEPKiS8_PKS5_iiSA_S6_PS5_21rocsparse_index_base_b.kd
    .uniform_work_group_size: 1
    .uses_dynamic_stack: false
    .vgpr_count:     16
    .vgpr_spill_count: 0
    .wavefront_size: 32
    .workgroup_processor_mode: 1
  - .args:
      - .offset:         0
        .size:           4
        .value_kind:     by_value
      - .offset:         4
        .size:           4
        .value_kind:     by_value
      - .offset:         8
        .size:           8
        .value_kind:     by_value
      - .actual_access:  read_only
        .address_space:  global
        .offset:         16
        .size:           8
        .value_kind:     global_buffer
      - .actual_access:  read_only
        .address_space:  global
        .offset:         24
        .size:           8
        .value_kind:     global_buffer
      - .actual_access:  read_only
        .address_space:  global
        .offset:         32
        .size:           8
        .value_kind:     global_buffer
      - .offset:         40
        .size:           4
        .value_kind:     by_value
      - .offset:         44
        .size:           4
        .value_kind:     by_value
      - .actual_access:  read_only
        .address_space:  global
        .offset:         48
        .size:           8
        .value_kind:     global_buffer
      - .offset:         56
        .size:           8
        .value_kind:     by_value
      - .address_space:  global
        .offset:         64
        .size:           8
        .value_kind:     global_buffer
      - .offset:         72
        .size:           4
        .value_kind:     by_value
      - .offset:         76
        .size:           1
        .value_kind:     by_value
    .group_segment_fixed_size: 520
    .kernarg_segment_align: 8
    .kernarg_segment_size: 80
    .language:       OpenCL C
    .language_version:
      - 2
      - 0
    .max_flat_workgroup_size: 65
    .name:           _ZN9rocsparseL22gebsrmvn_mxn_16_kernelILj65ELj13ELj5E21rocsparse_complex_numIfEEEvi20rocsparse_direction_NS_24const_host_device_scalarIT2_EEPKiS8_PKS5_iiSA_S6_PS5_21rocsparse_index_base_b
    .private_segment_fixed_size: 0
    .sgpr_count:     18
    .sgpr_spill_count: 0
    .symbol:         _ZN9rocsparseL22gebsrmvn_mxn_16_kernelILj65ELj13ELj5E21rocsparse_complex_numIfEEEvi20rocsparse_direction_NS_24const_host_device_scalarIT2_EEPKiS8_PKS5_iiSA_S6_PS5_21rocsparse_index_base_b.kd
    .uniform_work_group_size: 1
    .uses_dynamic_stack: false
    .vgpr_count:     17
    .vgpr_spill_count: 0
    .wavefront_size: 32
    .workgroup_processor_mode: 1
  - .args:
      - .offset:         0
        .size:           4
        .value_kind:     by_value
      - .offset:         4
        .size:           4
        .value_kind:     by_value
      - .offset:         8
        .size:           8
        .value_kind:     by_value
      - .actual_access:  read_only
        .address_space:  global
        .offset:         16
        .size:           8
        .value_kind:     global_buffer
      - .actual_access:  read_only
        .address_space:  global
        .offset:         24
        .size:           8
        .value_kind:     global_buffer
      - .actual_access:  read_only
        .address_space:  global
        .offset:         32
        .size:           8
        .value_kind:     global_buffer
      - .offset:         40
        .size:           4
        .value_kind:     by_value
      - .offset:         44
        .size:           4
        .value_kind:     by_value
      - .actual_access:  read_only
        .address_space:  global
        .offset:         48
        .size:           8
        .value_kind:     global_buffer
      - .offset:         56
        .size:           8
        .value_kind:     by_value
      - .address_space:  global
        .offset:         64
        .size:           8
        .value_kind:     global_buffer
      - .offset:         72
        .size:           4
        .value_kind:     by_value
      - .offset:         76
        .size:           1
        .value_kind:     by_value
    .group_segment_fixed_size: 624
    .kernarg_segment_align: 8
    .kernarg_segment_size: 80
    .language:       OpenCL C
    .language_version:
      - 2
      - 0
    .max_flat_workgroup_size: 78
    .name:           _ZN9rocsparseL22gebsrmvn_mxn_16_kernelILj78ELj13ELj6E21rocsparse_complex_numIfEEEvi20rocsparse_direction_NS_24const_host_device_scalarIT2_EEPKiS8_PKS5_iiSA_S6_PS5_21rocsparse_index_base_b
    .private_segment_fixed_size: 0
    .sgpr_count:     18
    .sgpr_spill_count: 0
    .symbol:         _ZN9rocsparseL22gebsrmvn_mxn_16_kernelILj78ELj13ELj6E21rocsparse_complex_numIfEEEvi20rocsparse_direction_NS_24const_host_device_scalarIT2_EEPKiS8_PKS5_iiSA_S6_PS5_21rocsparse_index_base_b.kd
    .uniform_work_group_size: 1
    .uses_dynamic_stack: false
    .vgpr_count:     17
    .vgpr_spill_count: 0
    .wavefront_size: 32
    .workgroup_processor_mode: 1
  - .args:
      - .offset:         0
        .size:           4
        .value_kind:     by_value
      - .offset:         4
        .size:           4
        .value_kind:     by_value
      - .offset:         8
        .size:           8
        .value_kind:     by_value
      - .actual_access:  read_only
        .address_space:  global
        .offset:         16
        .size:           8
        .value_kind:     global_buffer
      - .actual_access:  read_only
        .address_space:  global
        .offset:         24
        .size:           8
        .value_kind:     global_buffer
      - .actual_access:  read_only
        .address_space:  global
        .offset:         32
        .size:           8
        .value_kind:     global_buffer
      - .offset:         40
        .size:           4
        .value_kind:     by_value
      - .offset:         44
        .size:           4
        .value_kind:     by_value
      - .actual_access:  read_only
        .address_space:  global
        .offset:         48
        .size:           8
        .value_kind:     global_buffer
      - .offset:         56
        .size:           8
        .value_kind:     by_value
      - .address_space:  global
        .offset:         64
        .size:           8
        .value_kind:     global_buffer
      - .offset:         72
        .size:           4
        .value_kind:     by_value
      - .offset:         76
        .size:           1
        .value_kind:     by_value
    .group_segment_fixed_size: 728
    .kernarg_segment_align: 8
    .kernarg_segment_size: 80
    .language:       OpenCL C
    .language_version:
      - 2
      - 0
    .max_flat_workgroup_size: 91
    .name:           _ZN9rocsparseL22gebsrmvn_mxn_16_kernelILj91ELj13ELj7E21rocsparse_complex_numIfEEEvi20rocsparse_direction_NS_24const_host_device_scalarIT2_EEPKiS8_PKS5_iiSA_S6_PS5_21rocsparse_index_base_b
    .private_segment_fixed_size: 0
    .sgpr_count:     18
    .sgpr_spill_count: 0
    .symbol:         _ZN9rocsparseL22gebsrmvn_mxn_16_kernelILj91ELj13ELj7E21rocsparse_complex_numIfEEEvi20rocsparse_direction_NS_24const_host_device_scalarIT2_EEPKiS8_PKS5_iiSA_S6_PS5_21rocsparse_index_base_b.kd
    .uniform_work_group_size: 1
    .uses_dynamic_stack: false
    .vgpr_count:     17
    .vgpr_spill_count: 0
    .wavefront_size: 32
    .workgroup_processor_mode: 1
  - .args:
      - .offset:         0
        .size:           4
        .value_kind:     by_value
      - .offset:         4
        .size:           4
        .value_kind:     by_value
      - .offset:         8
        .size:           8
        .value_kind:     by_value
      - .actual_access:  read_only
        .address_space:  global
        .offset:         16
        .size:           8
        .value_kind:     global_buffer
      - .actual_access:  read_only
        .address_space:  global
        .offset:         24
        .size:           8
        .value_kind:     global_buffer
      - .actual_access:  read_only
        .address_space:  global
        .offset:         32
        .size:           8
        .value_kind:     global_buffer
      - .offset:         40
        .size:           4
        .value_kind:     by_value
      - .offset:         44
        .size:           4
        .value_kind:     by_value
      - .actual_access:  read_only
        .address_space:  global
        .offset:         48
        .size:           8
        .value_kind:     global_buffer
      - .offset:         56
        .size:           8
        .value_kind:     by_value
      - .address_space:  global
        .offset:         64
        .size:           8
        .value_kind:     global_buffer
      - .offset:         72
        .size:           4
        .value_kind:     by_value
      - .offset:         76
        .size:           1
        .value_kind:     by_value
    .group_segment_fixed_size: 832
    .kernarg_segment_align: 8
    .kernarg_segment_size: 80
    .language:       OpenCL C
    .language_version:
      - 2
      - 0
    .max_flat_workgroup_size: 104
    .name:           _ZN9rocsparseL22gebsrmvn_mxn_16_kernelILj104ELj13ELj8E21rocsparse_complex_numIfEEEvi20rocsparse_direction_NS_24const_host_device_scalarIT2_EEPKiS8_PKS5_iiSA_S6_PS5_21rocsparse_index_base_b
    .private_segment_fixed_size: 0
    .sgpr_count:     18
    .sgpr_spill_count: 0
    .symbol:         _ZN9rocsparseL22gebsrmvn_mxn_16_kernelILj104ELj13ELj8E21rocsparse_complex_numIfEEEvi20rocsparse_direction_NS_24const_host_device_scalarIT2_EEPKiS8_PKS5_iiSA_S6_PS5_21rocsparse_index_base_b.kd
    .uniform_work_group_size: 1
    .uses_dynamic_stack: false
    .vgpr_count:     16
    .vgpr_spill_count: 0
    .wavefront_size: 32
    .workgroup_processor_mode: 1
  - .args:
      - .offset:         0
        .size:           4
        .value_kind:     by_value
      - .offset:         4
        .size:           4
        .value_kind:     by_value
      - .offset:         8
        .size:           8
        .value_kind:     by_value
      - .actual_access:  read_only
        .address_space:  global
        .offset:         16
        .size:           8
        .value_kind:     global_buffer
      - .actual_access:  read_only
        .address_space:  global
        .offset:         24
        .size:           8
        .value_kind:     global_buffer
      - .actual_access:  read_only
        .address_space:  global
        .offset:         32
        .size:           8
        .value_kind:     global_buffer
      - .offset:         40
        .size:           4
        .value_kind:     by_value
      - .offset:         44
        .size:           4
        .value_kind:     by_value
      - .actual_access:  read_only
        .address_space:  global
        .offset:         48
        .size:           8
        .value_kind:     global_buffer
      - .offset:         56
        .size:           8
        .value_kind:     by_value
      - .address_space:  global
        .offset:         64
        .size:           8
        .value_kind:     global_buffer
      - .offset:         72
        .size:           4
        .value_kind:     by_value
      - .offset:         76
        .size:           1
        .value_kind:     by_value
    .group_segment_fixed_size: 0
    .kernarg_segment_align: 8
    .kernarg_segment_size: 80
    .language:       OpenCL C
    .language_version:
      - 2
      - 0
    .max_flat_workgroup_size: 256
    .name:           _ZN9rocsparseL23gebsrmvn_general_kernelILj256ELj16E21rocsparse_complex_numIfEEEvi20rocsparse_direction_NS_24const_host_device_scalarIT1_EEPKiS8_PKS5_iiSA_S6_PS5_21rocsparse_index_base_b
    .private_segment_fixed_size: 0
    .sgpr_count:     30
    .sgpr_spill_count: 0
    .symbol:         _ZN9rocsparseL23gebsrmvn_general_kernelILj256ELj16E21rocsparse_complex_numIfEEEvi20rocsparse_direction_NS_24const_host_device_scalarIT1_EEPKiS8_PKS5_iiSA_S6_PS5_21rocsparse_index_base_b.kd
    .uniform_work_group_size: 1
    .uses_dynamic_stack: false
    .vgpr_count:     19
    .vgpr_spill_count: 0
    .wavefront_size: 32
    .workgroup_processor_mode: 1
  - .args:
      - .offset:         0
        .size:           4
        .value_kind:     by_value
      - .offset:         4
        .size:           4
        .value_kind:     by_value
      - .offset:         8
        .size:           8
        .value_kind:     by_value
      - .actual_access:  read_only
        .address_space:  global
        .offset:         16
        .size:           8
        .value_kind:     global_buffer
      - .actual_access:  read_only
        .address_space:  global
        .offset:         24
        .size:           8
        .value_kind:     global_buffer
      - .actual_access:  read_only
        .address_space:  global
        .offset:         32
        .size:           8
        .value_kind:     global_buffer
      - .offset:         40
        .size:           4
        .value_kind:     by_value
      - .offset:         44
        .size:           4
        .value_kind:     by_value
      - .actual_access:  read_only
        .address_space:  global
        .offset:         48
        .size:           8
        .value_kind:     global_buffer
      - .offset:         56
        .size:           8
        .value_kind:     by_value
      - .address_space:  global
        .offset:         64
        .size:           8
        .value_kind:     global_buffer
      - .offset:         72
        .size:           4
        .value_kind:     by_value
      - .offset:         76
        .size:           1
        .value_kind:     by_value
    .group_segment_fixed_size: 0
    .kernarg_segment_align: 8
    .kernarg_segment_size: 80
    .language:       OpenCL C
    .language_version:
      - 2
      - 0
    .max_flat_workgroup_size: 512
    .name:           _ZN9rocsparseL23gebsrmvn_general_kernelILj512ELj32E21rocsparse_complex_numIfEEEvi20rocsparse_direction_NS_24const_host_device_scalarIT1_EEPKiS8_PKS5_iiSA_S6_PS5_21rocsparse_index_base_b
    .private_segment_fixed_size: 0
    .sgpr_count:     30
    .sgpr_spill_count: 0
    .symbol:         _ZN9rocsparseL23gebsrmvn_general_kernelILj512ELj32E21rocsparse_complex_numIfEEEvi20rocsparse_direction_NS_24const_host_device_scalarIT1_EEPKiS8_PKS5_iiSA_S6_PS5_21rocsparse_index_base_b.kd
    .uniform_work_group_size: 1
    .uses_dynamic_stack: false
    .vgpr_count:     20
    .vgpr_spill_count: 0
    .wavefront_size: 32
    .workgroup_processor_mode: 1
  - .args:
      - .offset:         0
        .size:           4
        .value_kind:     by_value
      - .offset:         4
        .size:           4
        .value_kind:     by_value
      - .offset:         8
        .size:           8
        .value_kind:     by_value
      - .actual_access:  read_only
        .address_space:  global
        .offset:         16
        .size:           8
        .value_kind:     global_buffer
      - .actual_access:  read_only
        .address_space:  global
        .offset:         24
        .size:           8
        .value_kind:     global_buffer
      - .actual_access:  read_only
        .address_space:  global
        .offset:         32
        .size:           8
        .value_kind:     global_buffer
      - .offset:         40
        .size:           4
        .value_kind:     by_value
      - .offset:         44
        .size:           4
        .value_kind:     by_value
      - .actual_access:  read_only
        .address_space:  global
        .offset:         48
        .size:           8
        .value_kind:     global_buffer
      - .offset:         56
        .size:           8
        .value_kind:     by_value
      - .address_space:  global
        .offset:         64
        .size:           8
        .value_kind:     global_buffer
      - .offset:         72
        .size:           4
        .value_kind:     by_value
      - .offset:         76
        .size:           1
        .value_kind:     by_value
    .group_segment_fixed_size: 448
    .kernarg_segment_align: 8
    .kernarg_segment_size: 80
    .language:       OpenCL C
    .language_version:
      - 2
      - 0
    .max_flat_workgroup_size: 56
    .name:           _ZN9rocsparseL22gebsrmvn_mxn_16_kernelILj56ELj14ELj1E21rocsparse_complex_numIfEEEvi20rocsparse_direction_NS_24const_host_device_scalarIT2_EEPKiS8_PKS5_iiSA_S6_PS5_21rocsparse_index_base_b
    .private_segment_fixed_size: 0
    .sgpr_count:     18
    .sgpr_spill_count: 0
    .symbol:         _ZN9rocsparseL22gebsrmvn_mxn_16_kernelILj56ELj14ELj1E21rocsparse_complex_numIfEEEvi20rocsparse_direction_NS_24const_host_device_scalarIT2_EEPKiS8_PKS5_iiSA_S6_PS5_21rocsparse_index_base_b.kd
    .uniform_work_group_size: 1
    .uses_dynamic_stack: false
    .vgpr_count:     15
    .vgpr_spill_count: 0
    .wavefront_size: 32
    .workgroup_processor_mode: 1
  - .args:
      - .offset:         0
        .size:           4
        .value_kind:     by_value
      - .offset:         4
        .size:           4
        .value_kind:     by_value
      - .offset:         8
        .size:           8
        .value_kind:     by_value
      - .actual_access:  read_only
        .address_space:  global
        .offset:         16
        .size:           8
        .value_kind:     global_buffer
      - .actual_access:  read_only
        .address_space:  global
        .offset:         24
        .size:           8
        .value_kind:     global_buffer
      - .actual_access:  read_only
        .address_space:  global
        .offset:         32
        .size:           8
        .value_kind:     global_buffer
      - .offset:         40
        .size:           4
        .value_kind:     by_value
      - .offset:         44
        .size:           4
        .value_kind:     by_value
      - .actual_access:  read_only
        .address_space:  global
        .offset:         48
        .size:           8
        .value_kind:     global_buffer
      - .offset:         56
        .size:           8
        .value_kind:     by_value
      - .address_space:  global
        .offset:         64
        .size:           8
        .value_kind:     global_buffer
      - .offset:         72
        .size:           4
        .value_kind:     by_value
      - .offset:         76
        .size:           1
        .value_kind:     by_value
    .group_segment_fixed_size: 448
    .kernarg_segment_align: 8
    .kernarg_segment_size: 80
    .language:       OpenCL C
    .language_version:
      - 2
      - 0
    .max_flat_workgroup_size: 56
    .name:           _ZN9rocsparseL22gebsrmvn_mxn_16_kernelILj56ELj14ELj2E21rocsparse_complex_numIfEEEvi20rocsparse_direction_NS_24const_host_device_scalarIT2_EEPKiS8_PKS5_iiSA_S6_PS5_21rocsparse_index_base_b
    .private_segment_fixed_size: 0
    .sgpr_count:     18
    .sgpr_spill_count: 0
    .symbol:         _ZN9rocsparseL22gebsrmvn_mxn_16_kernelILj56ELj14ELj2E21rocsparse_complex_numIfEEEvi20rocsparse_direction_NS_24const_host_device_scalarIT2_EEPKiS8_PKS5_iiSA_S6_PS5_21rocsparse_index_base_b.kd
    .uniform_work_group_size: 1
    .uses_dynamic_stack: false
    .vgpr_count:     16
    .vgpr_spill_count: 0
    .wavefront_size: 32
    .workgroup_processor_mode: 1
  - .args:
      - .offset:         0
        .size:           4
        .value_kind:     by_value
      - .offset:         4
        .size:           4
        .value_kind:     by_value
      - .offset:         8
        .size:           8
        .value_kind:     by_value
      - .actual_access:  read_only
        .address_space:  global
        .offset:         16
        .size:           8
        .value_kind:     global_buffer
      - .actual_access:  read_only
        .address_space:  global
        .offset:         24
        .size:           8
        .value_kind:     global_buffer
      - .actual_access:  read_only
        .address_space:  global
        .offset:         32
        .size:           8
        .value_kind:     global_buffer
      - .offset:         40
        .size:           4
        .value_kind:     by_value
      - .offset:         44
        .size:           4
        .value_kind:     by_value
      - .actual_access:  read_only
        .address_space:  global
        .offset:         48
        .size:           8
        .value_kind:     global_buffer
      - .offset:         56
        .size:           8
        .value_kind:     by_value
      - .address_space:  global
        .offset:         64
        .size:           8
        .value_kind:     global_buffer
      - .offset:         72
        .size:           4
        .value_kind:     by_value
      - .offset:         76
        .size:           1
        .value_kind:     by_value
    .group_segment_fixed_size: 336
    .kernarg_segment_align: 8
    .kernarg_segment_size: 80
    .language:       OpenCL C
    .language_version:
      - 2
      - 0
    .max_flat_workgroup_size: 42
    .name:           _ZN9rocsparseL22gebsrmvn_mxn_16_kernelILj42ELj14ELj3E21rocsparse_complex_numIfEEEvi20rocsparse_direction_NS_24const_host_device_scalarIT2_EEPKiS8_PKS5_iiSA_S6_PS5_21rocsparse_index_base_b
    .private_segment_fixed_size: 0
    .sgpr_count:     18
    .sgpr_spill_count: 0
    .symbol:         _ZN9rocsparseL22gebsrmvn_mxn_16_kernelILj42ELj14ELj3E21rocsparse_complex_numIfEEEvi20rocsparse_direction_NS_24const_host_device_scalarIT2_EEPKiS8_PKS5_iiSA_S6_PS5_21rocsparse_index_base_b.kd
    .uniform_work_group_size: 1
    .uses_dynamic_stack: false
    .vgpr_count:     16
    .vgpr_spill_count: 0
    .wavefront_size: 32
    .workgroup_processor_mode: 1
  - .args:
      - .offset:         0
        .size:           4
        .value_kind:     by_value
      - .offset:         4
        .size:           4
        .value_kind:     by_value
      - .offset:         8
        .size:           8
        .value_kind:     by_value
      - .actual_access:  read_only
        .address_space:  global
        .offset:         16
        .size:           8
        .value_kind:     global_buffer
      - .actual_access:  read_only
        .address_space:  global
        .offset:         24
        .size:           8
        .value_kind:     global_buffer
      - .actual_access:  read_only
        .address_space:  global
        .offset:         32
        .size:           8
        .value_kind:     global_buffer
      - .offset:         40
        .size:           4
        .value_kind:     by_value
      - .offset:         44
        .size:           4
        .value_kind:     by_value
      - .actual_access:  read_only
        .address_space:  global
        .offset:         48
        .size:           8
        .value_kind:     global_buffer
      - .offset:         56
        .size:           8
        .value_kind:     by_value
      - .address_space:  global
        .offset:         64
        .size:           8
        .value_kind:     global_buffer
      - .offset:         72
        .size:           4
        .value_kind:     by_value
      - .offset:         76
        .size:           1
        .value_kind:     by_value
    .group_segment_fixed_size: 448
    .kernarg_segment_align: 8
    .kernarg_segment_size: 80
    .language:       OpenCL C
    .language_version:
      - 2
      - 0
    .max_flat_workgroup_size: 56
    .name:           _ZN9rocsparseL22gebsrmvn_mxn_16_kernelILj56ELj14ELj4E21rocsparse_complex_numIfEEEvi20rocsparse_direction_NS_24const_host_device_scalarIT2_EEPKiS8_PKS5_iiSA_S6_PS5_21rocsparse_index_base_b
    .private_segment_fixed_size: 0
    .sgpr_count:     18
    .sgpr_spill_count: 0
    .symbol:         _ZN9rocsparseL22gebsrmvn_mxn_16_kernelILj56ELj14ELj4E21rocsparse_complex_numIfEEEvi20rocsparse_direction_NS_24const_host_device_scalarIT2_EEPKiS8_PKS5_iiSA_S6_PS5_21rocsparse_index_base_b.kd
    .uniform_work_group_size: 1
    .uses_dynamic_stack: false
    .vgpr_count:     16
    .vgpr_spill_count: 0
    .wavefront_size: 32
    .workgroup_processor_mode: 1
  - .args:
      - .offset:         0
        .size:           4
        .value_kind:     by_value
      - .offset:         4
        .size:           4
        .value_kind:     by_value
      - .offset:         8
        .size:           8
        .value_kind:     by_value
      - .actual_access:  read_only
        .address_space:  global
        .offset:         16
        .size:           8
        .value_kind:     global_buffer
      - .actual_access:  read_only
        .address_space:  global
        .offset:         24
        .size:           8
        .value_kind:     global_buffer
      - .actual_access:  read_only
        .address_space:  global
        .offset:         32
        .size:           8
        .value_kind:     global_buffer
      - .offset:         40
        .size:           4
        .value_kind:     by_value
      - .offset:         44
        .size:           4
        .value_kind:     by_value
      - .actual_access:  read_only
        .address_space:  global
        .offset:         48
        .size:           8
        .value_kind:     global_buffer
      - .offset:         56
        .size:           8
        .value_kind:     by_value
      - .address_space:  global
        .offset:         64
        .size:           8
        .value_kind:     global_buffer
      - .offset:         72
        .size:           4
        .value_kind:     by_value
      - .offset:         76
        .size:           1
        .value_kind:     by_value
    .group_segment_fixed_size: 560
    .kernarg_segment_align: 8
    .kernarg_segment_size: 80
    .language:       OpenCL C
    .language_version:
      - 2
      - 0
    .max_flat_workgroup_size: 70
    .name:           _ZN9rocsparseL22gebsrmvn_mxn_16_kernelILj70ELj14ELj5E21rocsparse_complex_numIfEEEvi20rocsparse_direction_NS_24const_host_device_scalarIT2_EEPKiS8_PKS5_iiSA_S6_PS5_21rocsparse_index_base_b
    .private_segment_fixed_size: 0
    .sgpr_count:     18
    .sgpr_spill_count: 0
    .symbol:         _ZN9rocsparseL22gebsrmvn_mxn_16_kernelILj70ELj14ELj5E21rocsparse_complex_numIfEEEvi20rocsparse_direction_NS_24const_host_device_scalarIT2_EEPKiS8_PKS5_iiSA_S6_PS5_21rocsparse_index_base_b.kd
    .uniform_work_group_size: 1
    .uses_dynamic_stack: false
    .vgpr_count:     17
    .vgpr_spill_count: 0
    .wavefront_size: 32
    .workgroup_processor_mode: 1
  - .args:
      - .offset:         0
        .size:           4
        .value_kind:     by_value
      - .offset:         4
        .size:           4
        .value_kind:     by_value
      - .offset:         8
        .size:           8
        .value_kind:     by_value
      - .actual_access:  read_only
        .address_space:  global
        .offset:         16
        .size:           8
        .value_kind:     global_buffer
      - .actual_access:  read_only
        .address_space:  global
        .offset:         24
        .size:           8
        .value_kind:     global_buffer
      - .actual_access:  read_only
        .address_space:  global
        .offset:         32
        .size:           8
        .value_kind:     global_buffer
      - .offset:         40
        .size:           4
        .value_kind:     by_value
      - .offset:         44
        .size:           4
        .value_kind:     by_value
      - .actual_access:  read_only
        .address_space:  global
        .offset:         48
        .size:           8
        .value_kind:     global_buffer
      - .offset:         56
        .size:           8
        .value_kind:     by_value
      - .address_space:  global
        .offset:         64
        .size:           8
        .value_kind:     global_buffer
      - .offset:         72
        .size:           4
        .value_kind:     by_value
      - .offset:         76
        .size:           1
        .value_kind:     by_value
    .group_segment_fixed_size: 672
    .kernarg_segment_align: 8
    .kernarg_segment_size: 80
    .language:       OpenCL C
    .language_version:
      - 2
      - 0
    .max_flat_workgroup_size: 84
    .name:           _ZN9rocsparseL22gebsrmvn_mxn_16_kernelILj84ELj14ELj6E21rocsparse_complex_numIfEEEvi20rocsparse_direction_NS_24const_host_device_scalarIT2_EEPKiS8_PKS5_iiSA_S6_PS5_21rocsparse_index_base_b
    .private_segment_fixed_size: 0
    .sgpr_count:     18
    .sgpr_spill_count: 0
    .symbol:         _ZN9rocsparseL22gebsrmvn_mxn_16_kernelILj84ELj14ELj6E21rocsparse_complex_numIfEEEvi20rocsparse_direction_NS_24const_host_device_scalarIT2_EEPKiS8_PKS5_iiSA_S6_PS5_21rocsparse_index_base_b.kd
    .uniform_work_group_size: 1
    .uses_dynamic_stack: false
    .vgpr_count:     17
    .vgpr_spill_count: 0
    .wavefront_size: 32
    .workgroup_processor_mode: 1
  - .args:
      - .offset:         0
        .size:           4
        .value_kind:     by_value
      - .offset:         4
        .size:           4
        .value_kind:     by_value
      - .offset:         8
        .size:           8
        .value_kind:     by_value
      - .actual_access:  read_only
        .address_space:  global
        .offset:         16
        .size:           8
        .value_kind:     global_buffer
      - .actual_access:  read_only
        .address_space:  global
        .offset:         24
        .size:           8
        .value_kind:     global_buffer
      - .actual_access:  read_only
        .address_space:  global
        .offset:         32
        .size:           8
        .value_kind:     global_buffer
      - .offset:         40
        .size:           4
        .value_kind:     by_value
      - .offset:         44
        .size:           4
        .value_kind:     by_value
      - .actual_access:  read_only
        .address_space:  global
        .offset:         48
        .size:           8
        .value_kind:     global_buffer
      - .offset:         56
        .size:           8
        .value_kind:     by_value
      - .address_space:  global
        .offset:         64
        .size:           8
        .value_kind:     global_buffer
      - .offset:         72
        .size:           4
        .value_kind:     by_value
      - .offset:         76
        .size:           1
        .value_kind:     by_value
    .group_segment_fixed_size: 784
    .kernarg_segment_align: 8
    .kernarg_segment_size: 80
    .language:       OpenCL C
    .language_version:
      - 2
      - 0
    .max_flat_workgroup_size: 98
    .name:           _ZN9rocsparseL22gebsrmvn_mxn_16_kernelILj98ELj14ELj7E21rocsparse_complex_numIfEEEvi20rocsparse_direction_NS_24const_host_device_scalarIT2_EEPKiS8_PKS5_iiSA_S6_PS5_21rocsparse_index_base_b
    .private_segment_fixed_size: 0
    .sgpr_count:     18
    .sgpr_spill_count: 0
    .symbol:         _ZN9rocsparseL22gebsrmvn_mxn_16_kernelILj98ELj14ELj7E21rocsparse_complex_numIfEEEvi20rocsparse_direction_NS_24const_host_device_scalarIT2_EEPKiS8_PKS5_iiSA_S6_PS5_21rocsparse_index_base_b.kd
    .uniform_work_group_size: 1
    .uses_dynamic_stack: false
    .vgpr_count:     17
    .vgpr_spill_count: 0
    .wavefront_size: 32
    .workgroup_processor_mode: 1
  - .args:
      - .offset:         0
        .size:           4
        .value_kind:     by_value
      - .offset:         4
        .size:           4
        .value_kind:     by_value
      - .offset:         8
        .size:           8
        .value_kind:     by_value
      - .actual_access:  read_only
        .address_space:  global
        .offset:         16
        .size:           8
        .value_kind:     global_buffer
      - .actual_access:  read_only
        .address_space:  global
        .offset:         24
        .size:           8
        .value_kind:     global_buffer
      - .actual_access:  read_only
        .address_space:  global
        .offset:         32
        .size:           8
        .value_kind:     global_buffer
      - .offset:         40
        .size:           4
        .value_kind:     by_value
      - .offset:         44
        .size:           4
        .value_kind:     by_value
      - .actual_access:  read_only
        .address_space:  global
        .offset:         48
        .size:           8
        .value_kind:     global_buffer
      - .offset:         56
        .size:           8
        .value_kind:     by_value
      - .address_space:  global
        .offset:         64
        .size:           8
        .value_kind:     global_buffer
      - .offset:         72
        .size:           4
        .value_kind:     by_value
      - .offset:         76
        .size:           1
        .value_kind:     by_value
    .group_segment_fixed_size: 896
    .kernarg_segment_align: 8
    .kernarg_segment_size: 80
    .language:       OpenCL C
    .language_version:
      - 2
      - 0
    .max_flat_workgroup_size: 112
    .name:           _ZN9rocsparseL22gebsrmvn_mxn_16_kernelILj112ELj14ELj8E21rocsparse_complex_numIfEEEvi20rocsparse_direction_NS_24const_host_device_scalarIT2_EEPKiS8_PKS5_iiSA_S6_PS5_21rocsparse_index_base_b
    .private_segment_fixed_size: 0
    .sgpr_count:     18
    .sgpr_spill_count: 0
    .symbol:         _ZN9rocsparseL22gebsrmvn_mxn_16_kernelILj112ELj14ELj8E21rocsparse_complex_numIfEEEvi20rocsparse_direction_NS_24const_host_device_scalarIT2_EEPKiS8_PKS5_iiSA_S6_PS5_21rocsparse_index_base_b.kd
    .uniform_work_group_size: 1
    .uses_dynamic_stack: false
    .vgpr_count:     16
    .vgpr_spill_count: 0
    .wavefront_size: 32
    .workgroup_processor_mode: 1
  - .args:
      - .offset:         0
        .size:           4
        .value_kind:     by_value
      - .offset:         4
        .size:           4
        .value_kind:     by_value
      - .offset:         8
        .size:           8
        .value_kind:     by_value
      - .actual_access:  read_only
        .address_space:  global
        .offset:         16
        .size:           8
        .value_kind:     global_buffer
      - .actual_access:  read_only
        .address_space:  global
        .offset:         24
        .size:           8
        .value_kind:     global_buffer
      - .actual_access:  read_only
        .address_space:  global
        .offset:         32
        .size:           8
        .value_kind:     global_buffer
      - .offset:         40
        .size:           4
        .value_kind:     by_value
      - .offset:         44
        .size:           4
        .value_kind:     by_value
      - .actual_access:  read_only
        .address_space:  global
        .offset:         48
        .size:           8
        .value_kind:     global_buffer
      - .offset:         56
        .size:           8
        .value_kind:     by_value
      - .address_space:  global
        .offset:         64
        .size:           8
        .value_kind:     global_buffer
      - .offset:         72
        .size:           4
        .value_kind:     by_value
      - .offset:         76
        .size:           1
        .value_kind:     by_value
    .group_segment_fixed_size: 480
    .kernarg_segment_align: 8
    .kernarg_segment_size: 80
    .language:       OpenCL C
    .language_version:
      - 2
      - 0
    .max_flat_workgroup_size: 60
    .name:           _ZN9rocsparseL22gebsrmvn_mxn_16_kernelILj60ELj15ELj1E21rocsparse_complex_numIfEEEvi20rocsparse_direction_NS_24const_host_device_scalarIT2_EEPKiS8_PKS5_iiSA_S6_PS5_21rocsparse_index_base_b
    .private_segment_fixed_size: 0
    .sgpr_count:     18
    .sgpr_spill_count: 0
    .symbol:         _ZN9rocsparseL22gebsrmvn_mxn_16_kernelILj60ELj15ELj1E21rocsparse_complex_numIfEEEvi20rocsparse_direction_NS_24const_host_device_scalarIT2_EEPKiS8_PKS5_iiSA_S6_PS5_21rocsparse_index_base_b.kd
    .uniform_work_group_size: 1
    .uses_dynamic_stack: false
    .vgpr_count:     15
    .vgpr_spill_count: 0
    .wavefront_size: 32
    .workgroup_processor_mode: 1
  - .args:
      - .offset:         0
        .size:           4
        .value_kind:     by_value
      - .offset:         4
        .size:           4
        .value_kind:     by_value
      - .offset:         8
        .size:           8
        .value_kind:     by_value
      - .actual_access:  read_only
        .address_space:  global
        .offset:         16
        .size:           8
        .value_kind:     global_buffer
      - .actual_access:  read_only
        .address_space:  global
        .offset:         24
        .size:           8
        .value_kind:     global_buffer
      - .actual_access:  read_only
        .address_space:  global
        .offset:         32
        .size:           8
        .value_kind:     global_buffer
      - .offset:         40
        .size:           4
        .value_kind:     by_value
      - .offset:         44
        .size:           4
        .value_kind:     by_value
      - .actual_access:  read_only
        .address_space:  global
        .offset:         48
        .size:           8
        .value_kind:     global_buffer
      - .offset:         56
        .size:           8
        .value_kind:     by_value
      - .address_space:  global
        .offset:         64
        .size:           8
        .value_kind:     global_buffer
      - .offset:         72
        .size:           4
        .value_kind:     by_value
      - .offset:         76
        .size:           1
        .value_kind:     by_value
    .group_segment_fixed_size: 480
    .kernarg_segment_align: 8
    .kernarg_segment_size: 80
    .language:       OpenCL C
    .language_version:
      - 2
      - 0
    .max_flat_workgroup_size: 60
    .name:           _ZN9rocsparseL22gebsrmvn_mxn_16_kernelILj60ELj15ELj2E21rocsparse_complex_numIfEEEvi20rocsparse_direction_NS_24const_host_device_scalarIT2_EEPKiS8_PKS5_iiSA_S6_PS5_21rocsparse_index_base_b
    .private_segment_fixed_size: 0
    .sgpr_count:     18
    .sgpr_spill_count: 0
    .symbol:         _ZN9rocsparseL22gebsrmvn_mxn_16_kernelILj60ELj15ELj2E21rocsparse_complex_numIfEEEvi20rocsparse_direction_NS_24const_host_device_scalarIT2_EEPKiS8_PKS5_iiSA_S6_PS5_21rocsparse_index_base_b.kd
    .uniform_work_group_size: 1
    .uses_dynamic_stack: false
    .vgpr_count:     16
    .vgpr_spill_count: 0
    .wavefront_size: 32
    .workgroup_processor_mode: 1
  - .args:
      - .offset:         0
        .size:           4
        .value_kind:     by_value
      - .offset:         4
        .size:           4
        .value_kind:     by_value
      - .offset:         8
        .size:           8
        .value_kind:     by_value
      - .actual_access:  read_only
        .address_space:  global
        .offset:         16
        .size:           8
        .value_kind:     global_buffer
      - .actual_access:  read_only
        .address_space:  global
        .offset:         24
        .size:           8
        .value_kind:     global_buffer
      - .actual_access:  read_only
        .address_space:  global
        .offset:         32
        .size:           8
        .value_kind:     global_buffer
      - .offset:         40
        .size:           4
        .value_kind:     by_value
      - .offset:         44
        .size:           4
        .value_kind:     by_value
      - .actual_access:  read_only
        .address_space:  global
        .offset:         48
        .size:           8
        .value_kind:     global_buffer
      - .offset:         56
        .size:           8
        .value_kind:     by_value
      - .address_space:  global
        .offset:         64
        .size:           8
        .value_kind:     global_buffer
      - .offset:         72
        .size:           4
        .value_kind:     by_value
      - .offset:         76
        .size:           1
        .value_kind:     by_value
    .group_segment_fixed_size: 360
    .kernarg_segment_align: 8
    .kernarg_segment_size: 80
    .language:       OpenCL C
    .language_version:
      - 2
      - 0
    .max_flat_workgroup_size: 45
    .name:           _ZN9rocsparseL22gebsrmvn_mxn_16_kernelILj45ELj15ELj3E21rocsparse_complex_numIfEEEvi20rocsparse_direction_NS_24const_host_device_scalarIT2_EEPKiS8_PKS5_iiSA_S6_PS5_21rocsparse_index_base_b
    .private_segment_fixed_size: 0
    .sgpr_count:     18
    .sgpr_spill_count: 0
    .symbol:         _ZN9rocsparseL22gebsrmvn_mxn_16_kernelILj45ELj15ELj3E21rocsparse_complex_numIfEEEvi20rocsparse_direction_NS_24const_host_device_scalarIT2_EEPKiS8_PKS5_iiSA_S6_PS5_21rocsparse_index_base_b.kd
    .uniform_work_group_size: 1
    .uses_dynamic_stack: false
    .vgpr_count:     16
    .vgpr_spill_count: 0
    .wavefront_size: 32
    .workgroup_processor_mode: 1
  - .args:
      - .offset:         0
        .size:           4
        .value_kind:     by_value
      - .offset:         4
        .size:           4
        .value_kind:     by_value
      - .offset:         8
        .size:           8
        .value_kind:     by_value
      - .actual_access:  read_only
        .address_space:  global
        .offset:         16
        .size:           8
        .value_kind:     global_buffer
      - .actual_access:  read_only
        .address_space:  global
        .offset:         24
        .size:           8
        .value_kind:     global_buffer
      - .actual_access:  read_only
        .address_space:  global
        .offset:         32
        .size:           8
        .value_kind:     global_buffer
      - .offset:         40
        .size:           4
        .value_kind:     by_value
      - .offset:         44
        .size:           4
        .value_kind:     by_value
      - .actual_access:  read_only
        .address_space:  global
        .offset:         48
        .size:           8
        .value_kind:     global_buffer
      - .offset:         56
        .size:           8
        .value_kind:     by_value
      - .address_space:  global
        .offset:         64
        .size:           8
        .value_kind:     global_buffer
      - .offset:         72
        .size:           4
        .value_kind:     by_value
      - .offset:         76
        .size:           1
        .value_kind:     by_value
    .group_segment_fixed_size: 480
    .kernarg_segment_align: 8
    .kernarg_segment_size: 80
    .language:       OpenCL C
    .language_version:
      - 2
      - 0
    .max_flat_workgroup_size: 60
    .name:           _ZN9rocsparseL22gebsrmvn_mxn_16_kernelILj60ELj15ELj4E21rocsparse_complex_numIfEEEvi20rocsparse_direction_NS_24const_host_device_scalarIT2_EEPKiS8_PKS5_iiSA_S6_PS5_21rocsparse_index_base_b
    .private_segment_fixed_size: 0
    .sgpr_count:     18
    .sgpr_spill_count: 0
    .symbol:         _ZN9rocsparseL22gebsrmvn_mxn_16_kernelILj60ELj15ELj4E21rocsparse_complex_numIfEEEvi20rocsparse_direction_NS_24const_host_device_scalarIT2_EEPKiS8_PKS5_iiSA_S6_PS5_21rocsparse_index_base_b.kd
    .uniform_work_group_size: 1
    .uses_dynamic_stack: false
    .vgpr_count:     16
    .vgpr_spill_count: 0
    .wavefront_size: 32
    .workgroup_processor_mode: 1
  - .args:
      - .offset:         0
        .size:           4
        .value_kind:     by_value
      - .offset:         4
        .size:           4
        .value_kind:     by_value
      - .offset:         8
        .size:           8
        .value_kind:     by_value
      - .actual_access:  read_only
        .address_space:  global
        .offset:         16
        .size:           8
        .value_kind:     global_buffer
      - .actual_access:  read_only
        .address_space:  global
        .offset:         24
        .size:           8
        .value_kind:     global_buffer
      - .actual_access:  read_only
        .address_space:  global
        .offset:         32
        .size:           8
        .value_kind:     global_buffer
      - .offset:         40
        .size:           4
        .value_kind:     by_value
      - .offset:         44
        .size:           4
        .value_kind:     by_value
      - .actual_access:  read_only
        .address_space:  global
        .offset:         48
        .size:           8
        .value_kind:     global_buffer
      - .offset:         56
        .size:           8
        .value_kind:     by_value
      - .address_space:  global
        .offset:         64
        .size:           8
        .value_kind:     global_buffer
      - .offset:         72
        .size:           4
        .value_kind:     by_value
      - .offset:         76
        .size:           1
        .value_kind:     by_value
    .group_segment_fixed_size: 600
    .kernarg_segment_align: 8
    .kernarg_segment_size: 80
    .language:       OpenCL C
    .language_version:
      - 2
      - 0
    .max_flat_workgroup_size: 75
    .name:           _ZN9rocsparseL22gebsrmvn_mxn_16_kernelILj75ELj15ELj5E21rocsparse_complex_numIfEEEvi20rocsparse_direction_NS_24const_host_device_scalarIT2_EEPKiS8_PKS5_iiSA_S6_PS5_21rocsparse_index_base_b
    .private_segment_fixed_size: 0
    .sgpr_count:     18
    .sgpr_spill_count: 0
    .symbol:         _ZN9rocsparseL22gebsrmvn_mxn_16_kernelILj75ELj15ELj5E21rocsparse_complex_numIfEEEvi20rocsparse_direction_NS_24const_host_device_scalarIT2_EEPKiS8_PKS5_iiSA_S6_PS5_21rocsparse_index_base_b.kd
    .uniform_work_group_size: 1
    .uses_dynamic_stack: false
    .vgpr_count:     17
    .vgpr_spill_count: 0
    .wavefront_size: 32
    .workgroup_processor_mode: 1
  - .args:
      - .offset:         0
        .size:           4
        .value_kind:     by_value
      - .offset:         4
        .size:           4
        .value_kind:     by_value
      - .offset:         8
        .size:           8
        .value_kind:     by_value
      - .actual_access:  read_only
        .address_space:  global
        .offset:         16
        .size:           8
        .value_kind:     global_buffer
      - .actual_access:  read_only
        .address_space:  global
        .offset:         24
        .size:           8
        .value_kind:     global_buffer
      - .actual_access:  read_only
        .address_space:  global
        .offset:         32
        .size:           8
        .value_kind:     global_buffer
      - .offset:         40
        .size:           4
        .value_kind:     by_value
      - .offset:         44
        .size:           4
        .value_kind:     by_value
      - .actual_access:  read_only
        .address_space:  global
        .offset:         48
        .size:           8
        .value_kind:     global_buffer
      - .offset:         56
        .size:           8
        .value_kind:     by_value
      - .address_space:  global
        .offset:         64
        .size:           8
        .value_kind:     global_buffer
      - .offset:         72
        .size:           4
        .value_kind:     by_value
      - .offset:         76
        .size:           1
        .value_kind:     by_value
    .group_segment_fixed_size: 720
    .kernarg_segment_align: 8
    .kernarg_segment_size: 80
    .language:       OpenCL C
    .language_version:
      - 2
      - 0
    .max_flat_workgroup_size: 90
    .name:           _ZN9rocsparseL22gebsrmvn_mxn_16_kernelILj90ELj15ELj6E21rocsparse_complex_numIfEEEvi20rocsparse_direction_NS_24const_host_device_scalarIT2_EEPKiS8_PKS5_iiSA_S6_PS5_21rocsparse_index_base_b
    .private_segment_fixed_size: 0
    .sgpr_count:     18
    .sgpr_spill_count: 0
    .symbol:         _ZN9rocsparseL22gebsrmvn_mxn_16_kernelILj90ELj15ELj6E21rocsparse_complex_numIfEEEvi20rocsparse_direction_NS_24const_host_device_scalarIT2_EEPKiS8_PKS5_iiSA_S6_PS5_21rocsparse_index_base_b.kd
    .uniform_work_group_size: 1
    .uses_dynamic_stack: false
    .vgpr_count:     17
    .vgpr_spill_count: 0
    .wavefront_size: 32
    .workgroup_processor_mode: 1
  - .args:
      - .offset:         0
        .size:           4
        .value_kind:     by_value
      - .offset:         4
        .size:           4
        .value_kind:     by_value
      - .offset:         8
        .size:           8
        .value_kind:     by_value
      - .actual_access:  read_only
        .address_space:  global
        .offset:         16
        .size:           8
        .value_kind:     global_buffer
      - .actual_access:  read_only
        .address_space:  global
        .offset:         24
        .size:           8
        .value_kind:     global_buffer
      - .actual_access:  read_only
        .address_space:  global
        .offset:         32
        .size:           8
        .value_kind:     global_buffer
      - .offset:         40
        .size:           4
        .value_kind:     by_value
      - .offset:         44
        .size:           4
        .value_kind:     by_value
      - .actual_access:  read_only
        .address_space:  global
        .offset:         48
        .size:           8
        .value_kind:     global_buffer
      - .offset:         56
        .size:           8
        .value_kind:     by_value
      - .address_space:  global
        .offset:         64
        .size:           8
        .value_kind:     global_buffer
      - .offset:         72
        .size:           4
        .value_kind:     by_value
      - .offset:         76
        .size:           1
        .value_kind:     by_value
    .group_segment_fixed_size: 840
    .kernarg_segment_align: 8
    .kernarg_segment_size: 80
    .language:       OpenCL C
    .language_version:
      - 2
      - 0
    .max_flat_workgroup_size: 105
    .name:           _ZN9rocsparseL22gebsrmvn_mxn_16_kernelILj105ELj15ELj7E21rocsparse_complex_numIfEEEvi20rocsparse_direction_NS_24const_host_device_scalarIT2_EEPKiS8_PKS5_iiSA_S6_PS5_21rocsparse_index_base_b
    .private_segment_fixed_size: 0
    .sgpr_count:     18
    .sgpr_spill_count: 0
    .symbol:         _ZN9rocsparseL22gebsrmvn_mxn_16_kernelILj105ELj15ELj7E21rocsparse_complex_numIfEEEvi20rocsparse_direction_NS_24const_host_device_scalarIT2_EEPKiS8_PKS5_iiSA_S6_PS5_21rocsparse_index_base_b.kd
    .uniform_work_group_size: 1
    .uses_dynamic_stack: false
    .vgpr_count:     17
    .vgpr_spill_count: 0
    .wavefront_size: 32
    .workgroup_processor_mode: 1
  - .args:
      - .offset:         0
        .size:           4
        .value_kind:     by_value
      - .offset:         4
        .size:           4
        .value_kind:     by_value
      - .offset:         8
        .size:           8
        .value_kind:     by_value
      - .actual_access:  read_only
        .address_space:  global
        .offset:         16
        .size:           8
        .value_kind:     global_buffer
      - .actual_access:  read_only
        .address_space:  global
        .offset:         24
        .size:           8
        .value_kind:     global_buffer
      - .actual_access:  read_only
        .address_space:  global
        .offset:         32
        .size:           8
        .value_kind:     global_buffer
      - .offset:         40
        .size:           4
        .value_kind:     by_value
      - .offset:         44
        .size:           4
        .value_kind:     by_value
      - .actual_access:  read_only
        .address_space:  global
        .offset:         48
        .size:           8
        .value_kind:     global_buffer
      - .offset:         56
        .size:           8
        .value_kind:     by_value
      - .address_space:  global
        .offset:         64
        .size:           8
        .value_kind:     global_buffer
      - .offset:         72
        .size:           4
        .value_kind:     by_value
      - .offset:         76
        .size:           1
        .value_kind:     by_value
    .group_segment_fixed_size: 960
    .kernarg_segment_align: 8
    .kernarg_segment_size: 80
    .language:       OpenCL C
    .language_version:
      - 2
      - 0
    .max_flat_workgroup_size: 120
    .name:           _ZN9rocsparseL22gebsrmvn_mxn_16_kernelILj120ELj15ELj8E21rocsparse_complex_numIfEEEvi20rocsparse_direction_NS_24const_host_device_scalarIT2_EEPKiS8_PKS5_iiSA_S6_PS5_21rocsparse_index_base_b
    .private_segment_fixed_size: 0
    .sgpr_count:     18
    .sgpr_spill_count: 0
    .symbol:         _ZN9rocsparseL22gebsrmvn_mxn_16_kernelILj120ELj15ELj8E21rocsparse_complex_numIfEEEvi20rocsparse_direction_NS_24const_host_device_scalarIT2_EEPKiS8_PKS5_iiSA_S6_PS5_21rocsparse_index_base_b.kd
    .uniform_work_group_size: 1
    .uses_dynamic_stack: false
    .vgpr_count:     16
    .vgpr_spill_count: 0
    .wavefront_size: 32
    .workgroup_processor_mode: 1
  - .args:
      - .offset:         0
        .size:           4
        .value_kind:     by_value
      - .offset:         4
        .size:           4
        .value_kind:     by_value
      - .offset:         8
        .size:           8
        .value_kind:     by_value
      - .actual_access:  read_only
        .address_space:  global
        .offset:         16
        .size:           8
        .value_kind:     global_buffer
      - .actual_access:  read_only
        .address_space:  global
        .offset:         24
        .size:           8
        .value_kind:     global_buffer
      - .actual_access:  read_only
        .address_space:  global
        .offset:         32
        .size:           8
        .value_kind:     global_buffer
      - .offset:         40
        .size:           4
        .value_kind:     by_value
      - .offset:         44
        .size:           4
        .value_kind:     by_value
      - .actual_access:  read_only
        .address_space:  global
        .offset:         48
        .size:           8
        .value_kind:     global_buffer
      - .offset:         56
        .size:           8
        .value_kind:     by_value
      - .address_space:  global
        .offset:         64
        .size:           8
        .value_kind:     global_buffer
      - .offset:         72
        .size:           4
        .value_kind:     by_value
      - .offset:         76
        .size:           1
        .value_kind:     by_value
    .group_segment_fixed_size: 512
    .kernarg_segment_align: 8
    .kernarg_segment_size: 80
    .language:       OpenCL C
    .language_version:
      - 2
      - 0
    .max_flat_workgroup_size: 64
    .name:           _ZN9rocsparseL22gebsrmvn_mxn_16_kernelILj64ELj16ELj1E21rocsparse_complex_numIfEEEvi20rocsparse_direction_NS_24const_host_device_scalarIT2_EEPKiS8_PKS5_iiSA_S6_PS5_21rocsparse_index_base_b
    .private_segment_fixed_size: 0
    .sgpr_count:     18
    .sgpr_spill_count: 0
    .symbol:         _ZN9rocsparseL22gebsrmvn_mxn_16_kernelILj64ELj16ELj1E21rocsparse_complex_numIfEEEvi20rocsparse_direction_NS_24const_host_device_scalarIT2_EEPKiS8_PKS5_iiSA_S6_PS5_21rocsparse_index_base_b.kd
    .uniform_work_group_size: 1
    .uses_dynamic_stack: false
    .vgpr_count:     15
    .vgpr_spill_count: 0
    .wavefront_size: 32
    .workgroup_processor_mode: 1
  - .args:
      - .offset:         0
        .size:           4
        .value_kind:     by_value
      - .offset:         4
        .size:           4
        .value_kind:     by_value
      - .offset:         8
        .size:           8
        .value_kind:     by_value
      - .actual_access:  read_only
        .address_space:  global
        .offset:         16
        .size:           8
        .value_kind:     global_buffer
      - .actual_access:  read_only
        .address_space:  global
        .offset:         24
        .size:           8
        .value_kind:     global_buffer
      - .actual_access:  read_only
        .address_space:  global
        .offset:         32
        .size:           8
        .value_kind:     global_buffer
      - .offset:         40
        .size:           4
        .value_kind:     by_value
      - .offset:         44
        .size:           4
        .value_kind:     by_value
      - .actual_access:  read_only
        .address_space:  global
        .offset:         48
        .size:           8
        .value_kind:     global_buffer
      - .offset:         56
        .size:           8
        .value_kind:     by_value
      - .address_space:  global
        .offset:         64
        .size:           8
        .value_kind:     global_buffer
      - .offset:         72
        .size:           4
        .value_kind:     by_value
      - .offset:         76
        .size:           1
        .value_kind:     by_value
    .group_segment_fixed_size: 512
    .kernarg_segment_align: 8
    .kernarg_segment_size: 80
    .language:       OpenCL C
    .language_version:
      - 2
      - 0
    .max_flat_workgroup_size: 64
    .name:           _ZN9rocsparseL22gebsrmvn_mxn_16_kernelILj64ELj16ELj2E21rocsparse_complex_numIfEEEvi20rocsparse_direction_NS_24const_host_device_scalarIT2_EEPKiS8_PKS5_iiSA_S6_PS5_21rocsparse_index_base_b
    .private_segment_fixed_size: 0
    .sgpr_count:     18
    .sgpr_spill_count: 0
    .symbol:         _ZN9rocsparseL22gebsrmvn_mxn_16_kernelILj64ELj16ELj2E21rocsparse_complex_numIfEEEvi20rocsparse_direction_NS_24const_host_device_scalarIT2_EEPKiS8_PKS5_iiSA_S6_PS5_21rocsparse_index_base_b.kd
    .uniform_work_group_size: 1
    .uses_dynamic_stack: false
    .vgpr_count:     16
    .vgpr_spill_count: 0
    .wavefront_size: 32
    .workgroup_processor_mode: 1
  - .args:
      - .offset:         0
        .size:           4
        .value_kind:     by_value
      - .offset:         4
        .size:           4
        .value_kind:     by_value
      - .offset:         8
        .size:           8
        .value_kind:     by_value
      - .actual_access:  read_only
        .address_space:  global
        .offset:         16
        .size:           8
        .value_kind:     global_buffer
      - .actual_access:  read_only
        .address_space:  global
        .offset:         24
        .size:           8
        .value_kind:     global_buffer
      - .actual_access:  read_only
        .address_space:  global
        .offset:         32
        .size:           8
        .value_kind:     global_buffer
      - .offset:         40
        .size:           4
        .value_kind:     by_value
      - .offset:         44
        .size:           4
        .value_kind:     by_value
      - .actual_access:  read_only
        .address_space:  global
        .offset:         48
        .size:           8
        .value_kind:     global_buffer
      - .offset:         56
        .size:           8
        .value_kind:     by_value
      - .address_space:  global
        .offset:         64
        .size:           8
        .value_kind:     global_buffer
      - .offset:         72
        .size:           4
        .value_kind:     by_value
      - .offset:         76
        .size:           1
        .value_kind:     by_value
    .group_segment_fixed_size: 384
    .kernarg_segment_align: 8
    .kernarg_segment_size: 80
    .language:       OpenCL C
    .language_version:
      - 2
      - 0
    .max_flat_workgroup_size: 48
    .name:           _ZN9rocsparseL22gebsrmvn_mxn_16_kernelILj48ELj16ELj3E21rocsparse_complex_numIfEEEvi20rocsparse_direction_NS_24const_host_device_scalarIT2_EEPKiS8_PKS5_iiSA_S6_PS5_21rocsparse_index_base_b
    .private_segment_fixed_size: 0
    .sgpr_count:     18
    .sgpr_spill_count: 0
    .symbol:         _ZN9rocsparseL22gebsrmvn_mxn_16_kernelILj48ELj16ELj3E21rocsparse_complex_numIfEEEvi20rocsparse_direction_NS_24const_host_device_scalarIT2_EEPKiS8_PKS5_iiSA_S6_PS5_21rocsparse_index_base_b.kd
    .uniform_work_group_size: 1
    .uses_dynamic_stack: false
    .vgpr_count:     16
    .vgpr_spill_count: 0
    .wavefront_size: 32
    .workgroup_processor_mode: 1
  - .args:
      - .offset:         0
        .size:           4
        .value_kind:     by_value
      - .offset:         4
        .size:           4
        .value_kind:     by_value
      - .offset:         8
        .size:           8
        .value_kind:     by_value
      - .actual_access:  read_only
        .address_space:  global
        .offset:         16
        .size:           8
        .value_kind:     global_buffer
      - .actual_access:  read_only
        .address_space:  global
        .offset:         24
        .size:           8
        .value_kind:     global_buffer
      - .actual_access:  read_only
        .address_space:  global
        .offset:         32
        .size:           8
        .value_kind:     global_buffer
      - .offset:         40
        .size:           4
        .value_kind:     by_value
      - .offset:         44
        .size:           4
        .value_kind:     by_value
      - .actual_access:  read_only
        .address_space:  global
        .offset:         48
        .size:           8
        .value_kind:     global_buffer
      - .offset:         56
        .size:           8
        .value_kind:     by_value
      - .address_space:  global
        .offset:         64
        .size:           8
        .value_kind:     global_buffer
      - .offset:         72
        .size:           4
        .value_kind:     by_value
      - .offset:         76
        .size:           1
        .value_kind:     by_value
    .group_segment_fixed_size: 512
    .kernarg_segment_align: 8
    .kernarg_segment_size: 80
    .language:       OpenCL C
    .language_version:
      - 2
      - 0
    .max_flat_workgroup_size: 64
    .name:           _ZN9rocsparseL22gebsrmvn_mxn_16_kernelILj64ELj16ELj4E21rocsparse_complex_numIfEEEvi20rocsparse_direction_NS_24const_host_device_scalarIT2_EEPKiS8_PKS5_iiSA_S6_PS5_21rocsparse_index_base_b
    .private_segment_fixed_size: 0
    .sgpr_count:     18
    .sgpr_spill_count: 0
    .symbol:         _ZN9rocsparseL22gebsrmvn_mxn_16_kernelILj64ELj16ELj4E21rocsparse_complex_numIfEEEvi20rocsparse_direction_NS_24const_host_device_scalarIT2_EEPKiS8_PKS5_iiSA_S6_PS5_21rocsparse_index_base_b.kd
    .uniform_work_group_size: 1
    .uses_dynamic_stack: false
    .vgpr_count:     15
    .vgpr_spill_count: 0
    .wavefront_size: 32
    .workgroup_processor_mode: 1
  - .args:
      - .offset:         0
        .size:           4
        .value_kind:     by_value
      - .offset:         4
        .size:           4
        .value_kind:     by_value
      - .offset:         8
        .size:           8
        .value_kind:     by_value
      - .actual_access:  read_only
        .address_space:  global
        .offset:         16
        .size:           8
        .value_kind:     global_buffer
      - .actual_access:  read_only
        .address_space:  global
        .offset:         24
        .size:           8
        .value_kind:     global_buffer
      - .actual_access:  read_only
        .address_space:  global
        .offset:         32
        .size:           8
        .value_kind:     global_buffer
      - .offset:         40
        .size:           4
        .value_kind:     by_value
      - .offset:         44
        .size:           4
        .value_kind:     by_value
      - .actual_access:  read_only
        .address_space:  global
        .offset:         48
        .size:           8
        .value_kind:     global_buffer
      - .offset:         56
        .size:           8
        .value_kind:     by_value
      - .address_space:  global
        .offset:         64
        .size:           8
        .value_kind:     global_buffer
      - .offset:         72
        .size:           4
        .value_kind:     by_value
      - .offset:         76
        .size:           1
        .value_kind:     by_value
    .group_segment_fixed_size: 640
    .kernarg_segment_align: 8
    .kernarg_segment_size: 80
    .language:       OpenCL C
    .language_version:
      - 2
      - 0
    .max_flat_workgroup_size: 80
    .name:           _ZN9rocsparseL22gebsrmvn_mxn_16_kernelILj80ELj16ELj5E21rocsparse_complex_numIfEEEvi20rocsparse_direction_NS_24const_host_device_scalarIT2_EEPKiS8_PKS5_iiSA_S6_PS5_21rocsparse_index_base_b
    .private_segment_fixed_size: 0
    .sgpr_count:     18
    .sgpr_spill_count: 0
    .symbol:         _ZN9rocsparseL22gebsrmvn_mxn_16_kernelILj80ELj16ELj5E21rocsparse_complex_numIfEEEvi20rocsparse_direction_NS_24const_host_device_scalarIT2_EEPKiS8_PKS5_iiSA_S6_PS5_21rocsparse_index_base_b.kd
    .uniform_work_group_size: 1
    .uses_dynamic_stack: false
    .vgpr_count:     17
    .vgpr_spill_count: 0
    .wavefront_size: 32
    .workgroup_processor_mode: 1
  - .args:
      - .offset:         0
        .size:           4
        .value_kind:     by_value
      - .offset:         4
        .size:           4
        .value_kind:     by_value
      - .offset:         8
        .size:           8
        .value_kind:     by_value
      - .actual_access:  read_only
        .address_space:  global
        .offset:         16
        .size:           8
        .value_kind:     global_buffer
      - .actual_access:  read_only
        .address_space:  global
        .offset:         24
        .size:           8
        .value_kind:     global_buffer
      - .actual_access:  read_only
        .address_space:  global
        .offset:         32
        .size:           8
        .value_kind:     global_buffer
      - .offset:         40
        .size:           4
        .value_kind:     by_value
      - .offset:         44
        .size:           4
        .value_kind:     by_value
      - .actual_access:  read_only
        .address_space:  global
        .offset:         48
        .size:           8
        .value_kind:     global_buffer
      - .offset:         56
        .size:           8
        .value_kind:     by_value
      - .address_space:  global
        .offset:         64
        .size:           8
        .value_kind:     global_buffer
      - .offset:         72
        .size:           4
        .value_kind:     by_value
      - .offset:         76
        .size:           1
        .value_kind:     by_value
    .group_segment_fixed_size: 768
    .kernarg_segment_align: 8
    .kernarg_segment_size: 80
    .language:       OpenCL C
    .language_version:
      - 2
      - 0
    .max_flat_workgroup_size: 96
    .name:           _ZN9rocsparseL22gebsrmvn_mxn_16_kernelILj96ELj16ELj6E21rocsparse_complex_numIfEEEvi20rocsparse_direction_NS_24const_host_device_scalarIT2_EEPKiS8_PKS5_iiSA_S6_PS5_21rocsparse_index_base_b
    .private_segment_fixed_size: 0
    .sgpr_count:     18
    .sgpr_spill_count: 0
    .symbol:         _ZN9rocsparseL22gebsrmvn_mxn_16_kernelILj96ELj16ELj6E21rocsparse_complex_numIfEEEvi20rocsparse_direction_NS_24const_host_device_scalarIT2_EEPKiS8_PKS5_iiSA_S6_PS5_21rocsparse_index_base_b.kd
    .uniform_work_group_size: 1
    .uses_dynamic_stack: false
    .vgpr_count:     17
    .vgpr_spill_count: 0
    .wavefront_size: 32
    .workgroup_processor_mode: 1
  - .args:
      - .offset:         0
        .size:           4
        .value_kind:     by_value
      - .offset:         4
        .size:           4
        .value_kind:     by_value
      - .offset:         8
        .size:           8
        .value_kind:     by_value
      - .actual_access:  read_only
        .address_space:  global
        .offset:         16
        .size:           8
        .value_kind:     global_buffer
      - .actual_access:  read_only
        .address_space:  global
        .offset:         24
        .size:           8
        .value_kind:     global_buffer
      - .actual_access:  read_only
        .address_space:  global
        .offset:         32
        .size:           8
        .value_kind:     global_buffer
      - .offset:         40
        .size:           4
        .value_kind:     by_value
      - .offset:         44
        .size:           4
        .value_kind:     by_value
      - .actual_access:  read_only
        .address_space:  global
        .offset:         48
        .size:           8
        .value_kind:     global_buffer
      - .offset:         56
        .size:           8
        .value_kind:     by_value
      - .address_space:  global
        .offset:         64
        .size:           8
        .value_kind:     global_buffer
      - .offset:         72
        .size:           4
        .value_kind:     by_value
      - .offset:         76
        .size:           1
        .value_kind:     by_value
    .group_segment_fixed_size: 896
    .kernarg_segment_align: 8
    .kernarg_segment_size: 80
    .language:       OpenCL C
    .language_version:
      - 2
      - 0
    .max_flat_workgroup_size: 112
    .name:           _ZN9rocsparseL22gebsrmvn_mxn_16_kernelILj112ELj16ELj7E21rocsparse_complex_numIfEEEvi20rocsparse_direction_NS_24const_host_device_scalarIT2_EEPKiS8_PKS5_iiSA_S6_PS5_21rocsparse_index_base_b
    .private_segment_fixed_size: 0
    .sgpr_count:     18
    .sgpr_spill_count: 0
    .symbol:         _ZN9rocsparseL22gebsrmvn_mxn_16_kernelILj112ELj16ELj7E21rocsparse_complex_numIfEEEvi20rocsparse_direction_NS_24const_host_device_scalarIT2_EEPKiS8_PKS5_iiSA_S6_PS5_21rocsparse_index_base_b.kd
    .uniform_work_group_size: 1
    .uses_dynamic_stack: false
    .vgpr_count:     17
    .vgpr_spill_count: 0
    .wavefront_size: 32
    .workgroup_processor_mode: 1
  - .args:
      - .offset:         0
        .size:           4
        .value_kind:     by_value
      - .offset:         4
        .size:           4
        .value_kind:     by_value
      - .offset:         8
        .size:           8
        .value_kind:     by_value
      - .actual_access:  read_only
        .address_space:  global
        .offset:         16
        .size:           8
        .value_kind:     global_buffer
      - .actual_access:  read_only
        .address_space:  global
        .offset:         24
        .size:           8
        .value_kind:     global_buffer
      - .actual_access:  read_only
        .address_space:  global
        .offset:         32
        .size:           8
        .value_kind:     global_buffer
      - .offset:         40
        .size:           4
        .value_kind:     by_value
      - .offset:         44
        .size:           4
        .value_kind:     by_value
      - .actual_access:  read_only
        .address_space:  global
        .offset:         48
        .size:           8
        .value_kind:     global_buffer
      - .offset:         56
        .size:           8
        .value_kind:     by_value
      - .address_space:  global
        .offset:         64
        .size:           8
        .value_kind:     global_buffer
      - .offset:         72
        .size:           4
        .value_kind:     by_value
      - .offset:         76
        .size:           1
        .value_kind:     by_value
    .group_segment_fixed_size: 1024
    .kernarg_segment_align: 8
    .kernarg_segment_size: 80
    .language:       OpenCL C
    .language_version:
      - 2
      - 0
    .max_flat_workgroup_size: 128
    .name:           _ZN9rocsparseL22gebsrmvn_mxn_16_kernelILj128ELj16ELj8E21rocsparse_complex_numIfEEEvi20rocsparse_direction_NS_24const_host_device_scalarIT2_EEPKiS8_PKS5_iiSA_S6_PS5_21rocsparse_index_base_b
    .private_segment_fixed_size: 0
    .sgpr_count:     18
    .sgpr_spill_count: 0
    .symbol:         _ZN9rocsparseL22gebsrmvn_mxn_16_kernelILj128ELj16ELj8E21rocsparse_complex_numIfEEEvi20rocsparse_direction_NS_24const_host_device_scalarIT2_EEPKiS8_PKS5_iiSA_S6_PS5_21rocsparse_index_base_b.kd
    .uniform_work_group_size: 1
    .uses_dynamic_stack: false
    .vgpr_count:     15
    .vgpr_spill_count: 0
    .wavefront_size: 32
    .workgroup_processor_mode: 1
  - .args:
      - .offset:         0
        .size:           4
        .value_kind:     by_value
      - .offset:         4
        .size:           4
        .value_kind:     by_value
      - .offset:         8
        .size:           16
        .value_kind:     by_value
      - .actual_access:  read_only
        .address_space:  global
        .offset:         24
        .size:           8
        .value_kind:     global_buffer
      - .actual_access:  read_only
        .address_space:  global
        .offset:         32
        .size:           8
        .value_kind:     global_buffer
      - .actual_access:  read_only
        .address_space:  global
        .offset:         40
        .size:           8
        .value_kind:     global_buffer
      - .offset:         48
        .size:           4
        .value_kind:     by_value
      - .offset:         52
        .size:           4
        .value_kind:     by_value
      - .actual_access:  read_only
        .address_space:  global
        .offset:         56
        .size:           8
        .value_kind:     global_buffer
      - .offset:         64
        .size:           16
        .value_kind:     by_value
      - .address_space:  global
        .offset:         80
        .size:           8
        .value_kind:     global_buffer
      - .offset:         88
        .size:           4
        .value_kind:     by_value
      - .offset:         92
        .size:           1
        .value_kind:     by_value
    .group_segment_fixed_size: 1664
    .kernarg_segment_align: 8
    .kernarg_segment_size: 96
    .language:       OpenCL C
    .language_version:
      - 2
      - 0
    .max_flat_workgroup_size: 52
    .name:           _ZN9rocsparseL22gebsrmvn_mxn_16_kernelILj52ELj13ELj1E21rocsparse_complex_numIdEEEvi20rocsparse_direction_NS_24const_host_device_scalarIT2_EEPKiS8_PKS5_iiSA_S6_PS5_21rocsparse_index_base_b
    .private_segment_fixed_size: 0
    .sgpr_count:     20
    .sgpr_spill_count: 0
    .symbol:         _ZN9rocsparseL22gebsrmvn_mxn_16_kernelILj52ELj13ELj1E21rocsparse_complex_numIdEEEvi20rocsparse_direction_NS_24const_host_device_scalarIT2_EEPKiS8_PKS5_iiSA_S6_PS5_21rocsparse_index_base_b.kd
    .uniform_work_group_size: 1
    .uses_dynamic_stack: false
    .vgpr_count:     26
    .vgpr_spill_count: 0
    .wavefront_size: 32
    .workgroup_processor_mode: 1
  - .args:
      - .offset:         0
        .size:           4
        .value_kind:     by_value
      - .offset:         4
        .size:           4
        .value_kind:     by_value
      - .offset:         8
        .size:           16
        .value_kind:     by_value
      - .actual_access:  read_only
        .address_space:  global
        .offset:         24
        .size:           8
        .value_kind:     global_buffer
      - .actual_access:  read_only
        .address_space:  global
        .offset:         32
        .size:           8
        .value_kind:     global_buffer
      - .actual_access:  read_only
        .address_space:  global
        .offset:         40
        .size:           8
        .value_kind:     global_buffer
      - .offset:         48
        .size:           4
        .value_kind:     by_value
      - .offset:         52
        .size:           4
        .value_kind:     by_value
      - .actual_access:  read_only
        .address_space:  global
        .offset:         56
        .size:           8
        .value_kind:     global_buffer
      - .offset:         64
        .size:           16
        .value_kind:     by_value
      - .address_space:  global
        .offset:         80
        .size:           8
        .value_kind:     global_buffer
      - .offset:         88
        .size:           4
        .value_kind:     by_value
      - .offset:         92
        .size:           1
        .value_kind:     by_value
    .group_segment_fixed_size: 1664
    .kernarg_segment_align: 8
    .kernarg_segment_size: 96
    .language:       OpenCL C
    .language_version:
      - 2
      - 0
    .max_flat_workgroup_size: 52
    .name:           _ZN9rocsparseL22gebsrmvn_mxn_16_kernelILj52ELj13ELj2E21rocsparse_complex_numIdEEEvi20rocsparse_direction_NS_24const_host_device_scalarIT2_EEPKiS8_PKS5_iiSA_S6_PS5_21rocsparse_index_base_b
    .private_segment_fixed_size: 0
    .sgpr_count:     20
    .sgpr_spill_count: 0
    .symbol:         _ZN9rocsparseL22gebsrmvn_mxn_16_kernelILj52ELj13ELj2E21rocsparse_complex_numIdEEEvi20rocsparse_direction_NS_24const_host_device_scalarIT2_EEPKiS8_PKS5_iiSA_S6_PS5_21rocsparse_index_base_b.kd
    .uniform_work_group_size: 1
    .uses_dynamic_stack: false
    .vgpr_count:     28
    .vgpr_spill_count: 0
    .wavefront_size: 32
    .workgroup_processor_mode: 1
  - .args:
      - .offset:         0
        .size:           4
        .value_kind:     by_value
      - .offset:         4
        .size:           4
        .value_kind:     by_value
      - .offset:         8
        .size:           16
        .value_kind:     by_value
      - .actual_access:  read_only
        .address_space:  global
        .offset:         24
        .size:           8
        .value_kind:     global_buffer
      - .actual_access:  read_only
        .address_space:  global
        .offset:         32
        .size:           8
        .value_kind:     global_buffer
      - .actual_access:  read_only
        .address_space:  global
        .offset:         40
        .size:           8
        .value_kind:     global_buffer
      - .offset:         48
        .size:           4
        .value_kind:     by_value
      - .offset:         52
        .size:           4
        .value_kind:     by_value
      - .actual_access:  read_only
        .address_space:  global
        .offset:         56
        .size:           8
        .value_kind:     global_buffer
      - .offset:         64
        .size:           16
        .value_kind:     by_value
      - .address_space:  global
        .offset:         80
        .size:           8
        .value_kind:     global_buffer
      - .offset:         88
        .size:           4
        .value_kind:     by_value
      - .offset:         92
        .size:           1
        .value_kind:     by_value
    .group_segment_fixed_size: 1248
    .kernarg_segment_align: 8
    .kernarg_segment_size: 96
    .language:       OpenCL C
    .language_version:
      - 2
      - 0
    .max_flat_workgroup_size: 39
    .name:           _ZN9rocsparseL22gebsrmvn_mxn_16_kernelILj39ELj13ELj3E21rocsparse_complex_numIdEEEvi20rocsparse_direction_NS_24const_host_device_scalarIT2_EEPKiS8_PKS5_iiSA_S6_PS5_21rocsparse_index_base_b
    .private_segment_fixed_size: 0
    .sgpr_count:     20
    .sgpr_spill_count: 0
    .symbol:         _ZN9rocsparseL22gebsrmvn_mxn_16_kernelILj39ELj13ELj3E21rocsparse_complex_numIdEEEvi20rocsparse_direction_NS_24const_host_device_scalarIT2_EEPKiS8_PKS5_iiSA_S6_PS5_21rocsparse_index_base_b.kd
    .uniform_work_group_size: 1
    .uses_dynamic_stack: false
    .vgpr_count:     28
    .vgpr_spill_count: 0
    .wavefront_size: 32
    .workgroup_processor_mode: 1
  - .args:
      - .offset:         0
        .size:           4
        .value_kind:     by_value
      - .offset:         4
        .size:           4
        .value_kind:     by_value
      - .offset:         8
        .size:           16
        .value_kind:     by_value
      - .actual_access:  read_only
        .address_space:  global
        .offset:         24
        .size:           8
        .value_kind:     global_buffer
      - .actual_access:  read_only
        .address_space:  global
        .offset:         32
        .size:           8
        .value_kind:     global_buffer
      - .actual_access:  read_only
        .address_space:  global
        .offset:         40
        .size:           8
        .value_kind:     global_buffer
      - .offset:         48
        .size:           4
        .value_kind:     by_value
      - .offset:         52
        .size:           4
        .value_kind:     by_value
      - .actual_access:  read_only
        .address_space:  global
        .offset:         56
        .size:           8
        .value_kind:     global_buffer
      - .offset:         64
        .size:           16
        .value_kind:     by_value
      - .address_space:  global
        .offset:         80
        .size:           8
        .value_kind:     global_buffer
      - .offset:         88
        .size:           4
        .value_kind:     by_value
      - .offset:         92
        .size:           1
        .value_kind:     by_value
    .group_segment_fixed_size: 1664
    .kernarg_segment_align: 8
    .kernarg_segment_size: 96
    .language:       OpenCL C
    .language_version:
      - 2
      - 0
    .max_flat_workgroup_size: 52
    .name:           _ZN9rocsparseL22gebsrmvn_mxn_16_kernelILj52ELj13ELj4E21rocsparse_complex_numIdEEEvi20rocsparse_direction_NS_24const_host_device_scalarIT2_EEPKiS8_PKS5_iiSA_S6_PS5_21rocsparse_index_base_b
    .private_segment_fixed_size: 0
    .sgpr_count:     20
    .sgpr_spill_count: 0
    .symbol:         _ZN9rocsparseL22gebsrmvn_mxn_16_kernelILj52ELj13ELj4E21rocsparse_complex_numIdEEEvi20rocsparse_direction_NS_24const_host_device_scalarIT2_EEPKiS8_PKS5_iiSA_S6_PS5_21rocsparse_index_base_b.kd
    .uniform_work_group_size: 1
    .uses_dynamic_stack: false
    .vgpr_count:     28
    .vgpr_spill_count: 0
    .wavefront_size: 32
    .workgroup_processor_mode: 1
  - .args:
      - .offset:         0
        .size:           4
        .value_kind:     by_value
      - .offset:         4
        .size:           4
        .value_kind:     by_value
      - .offset:         8
        .size:           16
        .value_kind:     by_value
      - .actual_access:  read_only
        .address_space:  global
        .offset:         24
        .size:           8
        .value_kind:     global_buffer
      - .actual_access:  read_only
        .address_space:  global
        .offset:         32
        .size:           8
        .value_kind:     global_buffer
      - .actual_access:  read_only
        .address_space:  global
        .offset:         40
        .size:           8
        .value_kind:     global_buffer
      - .offset:         48
        .size:           4
        .value_kind:     by_value
      - .offset:         52
        .size:           4
        .value_kind:     by_value
      - .actual_access:  read_only
        .address_space:  global
        .offset:         56
        .size:           8
        .value_kind:     global_buffer
      - .offset:         64
        .size:           16
        .value_kind:     by_value
      - .address_space:  global
        .offset:         80
        .size:           8
        .value_kind:     global_buffer
      - .offset:         88
        .size:           4
        .value_kind:     by_value
      - .offset:         92
        .size:           1
        .value_kind:     by_value
    .group_segment_fixed_size: 2080
    .kernarg_segment_align: 8
    .kernarg_segment_size: 96
    .language:       OpenCL C
    .language_version:
      - 2
      - 0
    .max_flat_workgroup_size: 65
    .name:           _ZN9rocsparseL22gebsrmvn_mxn_16_kernelILj65ELj13ELj5E21rocsparse_complex_numIdEEEvi20rocsparse_direction_NS_24const_host_device_scalarIT2_EEPKiS8_PKS5_iiSA_S6_PS5_21rocsparse_index_base_b
    .private_segment_fixed_size: 0
    .sgpr_count:     20
    .sgpr_spill_count: 0
    .symbol:         _ZN9rocsparseL22gebsrmvn_mxn_16_kernelILj65ELj13ELj5E21rocsparse_complex_numIdEEEvi20rocsparse_direction_NS_24const_host_device_scalarIT2_EEPKiS8_PKS5_iiSA_S6_PS5_21rocsparse_index_base_b.kd
    .uniform_work_group_size: 1
    .uses_dynamic_stack: false
    .vgpr_count:     28
    .vgpr_spill_count: 0
    .wavefront_size: 32
    .workgroup_processor_mode: 1
  - .args:
      - .offset:         0
        .size:           4
        .value_kind:     by_value
      - .offset:         4
        .size:           4
        .value_kind:     by_value
      - .offset:         8
        .size:           16
        .value_kind:     by_value
      - .actual_access:  read_only
        .address_space:  global
        .offset:         24
        .size:           8
        .value_kind:     global_buffer
      - .actual_access:  read_only
        .address_space:  global
        .offset:         32
        .size:           8
        .value_kind:     global_buffer
      - .actual_access:  read_only
        .address_space:  global
        .offset:         40
        .size:           8
        .value_kind:     global_buffer
      - .offset:         48
        .size:           4
        .value_kind:     by_value
      - .offset:         52
        .size:           4
        .value_kind:     by_value
      - .actual_access:  read_only
        .address_space:  global
        .offset:         56
        .size:           8
        .value_kind:     global_buffer
      - .offset:         64
        .size:           16
        .value_kind:     by_value
      - .address_space:  global
        .offset:         80
        .size:           8
        .value_kind:     global_buffer
      - .offset:         88
        .size:           4
        .value_kind:     by_value
      - .offset:         92
        .size:           1
        .value_kind:     by_value
    .group_segment_fixed_size: 2496
    .kernarg_segment_align: 8
    .kernarg_segment_size: 96
    .language:       OpenCL C
    .language_version:
      - 2
      - 0
    .max_flat_workgroup_size: 78
    .name:           _ZN9rocsparseL22gebsrmvn_mxn_16_kernelILj78ELj13ELj6E21rocsparse_complex_numIdEEEvi20rocsparse_direction_NS_24const_host_device_scalarIT2_EEPKiS8_PKS5_iiSA_S6_PS5_21rocsparse_index_base_b
    .private_segment_fixed_size: 0
    .sgpr_count:     20
    .sgpr_spill_count: 0
    .symbol:         _ZN9rocsparseL22gebsrmvn_mxn_16_kernelILj78ELj13ELj6E21rocsparse_complex_numIdEEEvi20rocsparse_direction_NS_24const_host_device_scalarIT2_EEPKiS8_PKS5_iiSA_S6_PS5_21rocsparse_index_base_b.kd
    .uniform_work_group_size: 1
    .uses_dynamic_stack: false
    .vgpr_count:     28
    .vgpr_spill_count: 0
    .wavefront_size: 32
    .workgroup_processor_mode: 1
  - .args:
      - .offset:         0
        .size:           4
        .value_kind:     by_value
      - .offset:         4
        .size:           4
        .value_kind:     by_value
      - .offset:         8
        .size:           16
        .value_kind:     by_value
      - .actual_access:  read_only
        .address_space:  global
        .offset:         24
        .size:           8
        .value_kind:     global_buffer
      - .actual_access:  read_only
        .address_space:  global
        .offset:         32
        .size:           8
        .value_kind:     global_buffer
      - .actual_access:  read_only
        .address_space:  global
        .offset:         40
        .size:           8
        .value_kind:     global_buffer
      - .offset:         48
        .size:           4
        .value_kind:     by_value
      - .offset:         52
        .size:           4
        .value_kind:     by_value
      - .actual_access:  read_only
        .address_space:  global
        .offset:         56
        .size:           8
        .value_kind:     global_buffer
      - .offset:         64
        .size:           16
        .value_kind:     by_value
      - .address_space:  global
        .offset:         80
        .size:           8
        .value_kind:     global_buffer
      - .offset:         88
        .size:           4
        .value_kind:     by_value
      - .offset:         92
        .size:           1
        .value_kind:     by_value
    .group_segment_fixed_size: 2912
    .kernarg_segment_align: 8
    .kernarg_segment_size: 96
    .language:       OpenCL C
    .language_version:
      - 2
      - 0
    .max_flat_workgroup_size: 91
    .name:           _ZN9rocsparseL22gebsrmvn_mxn_16_kernelILj91ELj13ELj7E21rocsparse_complex_numIdEEEvi20rocsparse_direction_NS_24const_host_device_scalarIT2_EEPKiS8_PKS5_iiSA_S6_PS5_21rocsparse_index_base_b
    .private_segment_fixed_size: 0
    .sgpr_count:     20
    .sgpr_spill_count: 0
    .symbol:         _ZN9rocsparseL22gebsrmvn_mxn_16_kernelILj91ELj13ELj7E21rocsparse_complex_numIdEEEvi20rocsparse_direction_NS_24const_host_device_scalarIT2_EEPKiS8_PKS5_iiSA_S6_PS5_21rocsparse_index_base_b.kd
    .uniform_work_group_size: 1
    .uses_dynamic_stack: false
    .vgpr_count:     28
    .vgpr_spill_count: 0
    .wavefront_size: 32
    .workgroup_processor_mode: 1
  - .args:
      - .offset:         0
        .size:           4
        .value_kind:     by_value
      - .offset:         4
        .size:           4
        .value_kind:     by_value
      - .offset:         8
        .size:           16
        .value_kind:     by_value
      - .actual_access:  read_only
        .address_space:  global
        .offset:         24
        .size:           8
        .value_kind:     global_buffer
      - .actual_access:  read_only
        .address_space:  global
        .offset:         32
        .size:           8
        .value_kind:     global_buffer
      - .actual_access:  read_only
        .address_space:  global
        .offset:         40
        .size:           8
        .value_kind:     global_buffer
      - .offset:         48
        .size:           4
        .value_kind:     by_value
      - .offset:         52
        .size:           4
        .value_kind:     by_value
      - .actual_access:  read_only
        .address_space:  global
        .offset:         56
        .size:           8
        .value_kind:     global_buffer
      - .offset:         64
        .size:           16
        .value_kind:     by_value
      - .address_space:  global
        .offset:         80
        .size:           8
        .value_kind:     global_buffer
      - .offset:         88
        .size:           4
        .value_kind:     by_value
      - .offset:         92
        .size:           1
        .value_kind:     by_value
    .group_segment_fixed_size: 3328
    .kernarg_segment_align: 8
    .kernarg_segment_size: 96
    .language:       OpenCL C
    .language_version:
      - 2
      - 0
    .max_flat_workgroup_size: 104
    .name:           _ZN9rocsparseL22gebsrmvn_mxn_16_kernelILj104ELj13ELj8E21rocsparse_complex_numIdEEEvi20rocsparse_direction_NS_24const_host_device_scalarIT2_EEPKiS8_PKS5_iiSA_S6_PS5_21rocsparse_index_base_b
    .private_segment_fixed_size: 0
    .sgpr_count:     20
    .sgpr_spill_count: 0
    .symbol:         _ZN9rocsparseL22gebsrmvn_mxn_16_kernelILj104ELj13ELj8E21rocsparse_complex_numIdEEEvi20rocsparse_direction_NS_24const_host_device_scalarIT2_EEPKiS8_PKS5_iiSA_S6_PS5_21rocsparse_index_base_b.kd
    .uniform_work_group_size: 1
    .uses_dynamic_stack: false
    .vgpr_count:     28
    .vgpr_spill_count: 0
    .wavefront_size: 32
    .workgroup_processor_mode: 1
  - .args:
      - .offset:         0
        .size:           4
        .value_kind:     by_value
      - .offset:         4
        .size:           4
        .value_kind:     by_value
      - .offset:         8
        .size:           16
        .value_kind:     by_value
      - .actual_access:  read_only
        .address_space:  global
        .offset:         24
        .size:           8
        .value_kind:     global_buffer
      - .actual_access:  read_only
        .address_space:  global
        .offset:         32
        .size:           8
        .value_kind:     global_buffer
      - .actual_access:  read_only
        .address_space:  global
        .offset:         40
        .size:           8
        .value_kind:     global_buffer
      - .offset:         48
        .size:           4
        .value_kind:     by_value
      - .offset:         52
        .size:           4
        .value_kind:     by_value
      - .actual_access:  read_only
        .address_space:  global
        .offset:         56
        .size:           8
        .value_kind:     global_buffer
      - .offset:         64
        .size:           16
        .value_kind:     by_value
      - .address_space:  global
        .offset:         80
        .size:           8
        .value_kind:     global_buffer
      - .offset:         88
        .size:           4
        .value_kind:     by_value
      - .offset:         92
        .size:           1
        .value_kind:     by_value
    .group_segment_fixed_size: 4096
    .kernarg_segment_align: 8
    .kernarg_segment_size: 96
    .language:       OpenCL C
    .language_version:
      - 2
      - 0
    .max_flat_workgroup_size: 256
    .name:           _ZN9rocsparseL23gebsrmvn_general_kernelILj256ELj16E21rocsparse_complex_numIdEEEvi20rocsparse_direction_NS_24const_host_device_scalarIT1_EEPKiS8_PKS5_iiSA_S6_PS5_21rocsparse_index_base_b
    .private_segment_fixed_size: 0
    .sgpr_count:     30
    .sgpr_spill_count: 0
    .symbol:         _ZN9rocsparseL23gebsrmvn_general_kernelILj256ELj16E21rocsparse_complex_numIdEEEvi20rocsparse_direction_NS_24const_host_device_scalarIT1_EEPKiS8_PKS5_iiSA_S6_PS5_21rocsparse_index_base_b.kd
    .uniform_work_group_size: 1
    .uses_dynamic_stack: false
    .vgpr_count:     31
    .vgpr_spill_count: 0
    .wavefront_size: 32
    .workgroup_processor_mode: 1
  - .args:
      - .offset:         0
        .size:           4
        .value_kind:     by_value
      - .offset:         4
        .size:           4
        .value_kind:     by_value
      - .offset:         8
        .size:           16
        .value_kind:     by_value
      - .actual_access:  read_only
        .address_space:  global
        .offset:         24
        .size:           8
        .value_kind:     global_buffer
      - .actual_access:  read_only
        .address_space:  global
        .offset:         32
        .size:           8
        .value_kind:     global_buffer
      - .actual_access:  read_only
        .address_space:  global
        .offset:         40
        .size:           8
        .value_kind:     global_buffer
      - .offset:         48
        .size:           4
        .value_kind:     by_value
      - .offset:         52
        .size:           4
        .value_kind:     by_value
      - .actual_access:  read_only
        .address_space:  global
        .offset:         56
        .size:           8
        .value_kind:     global_buffer
      - .offset:         64
        .size:           16
        .value_kind:     by_value
      - .address_space:  global
        .offset:         80
        .size:           8
        .value_kind:     global_buffer
      - .offset:         88
        .size:           4
        .value_kind:     by_value
      - .offset:         92
        .size:           1
        .value_kind:     by_value
    .group_segment_fixed_size: 8192
    .kernarg_segment_align: 8
    .kernarg_segment_size: 96
    .language:       OpenCL C
    .language_version:
      - 2
      - 0
    .max_flat_workgroup_size: 512
    .name:           _ZN9rocsparseL23gebsrmvn_general_kernelILj512ELj32E21rocsparse_complex_numIdEEEvi20rocsparse_direction_NS_24const_host_device_scalarIT1_EEPKiS8_PKS5_iiSA_S6_PS5_21rocsparse_index_base_b
    .private_segment_fixed_size: 0
    .sgpr_count:     30
    .sgpr_spill_count: 0
    .symbol:         _ZN9rocsparseL23gebsrmvn_general_kernelILj512ELj32E21rocsparse_complex_numIdEEEvi20rocsparse_direction_NS_24const_host_device_scalarIT1_EEPKiS8_PKS5_iiSA_S6_PS5_21rocsparse_index_base_b.kd
    .uniform_work_group_size: 1
    .uses_dynamic_stack: false
    .vgpr_count:     32
    .vgpr_spill_count: 0
    .wavefront_size: 32
    .workgroup_processor_mode: 1
  - .args:
      - .offset:         0
        .size:           4
        .value_kind:     by_value
      - .offset:         4
        .size:           4
        .value_kind:     by_value
      - .offset:         8
        .size:           16
        .value_kind:     by_value
      - .actual_access:  read_only
        .address_space:  global
        .offset:         24
        .size:           8
        .value_kind:     global_buffer
      - .actual_access:  read_only
        .address_space:  global
        .offset:         32
        .size:           8
        .value_kind:     global_buffer
      - .actual_access:  read_only
        .address_space:  global
        .offset:         40
        .size:           8
        .value_kind:     global_buffer
      - .offset:         48
        .size:           4
        .value_kind:     by_value
      - .offset:         52
        .size:           4
        .value_kind:     by_value
      - .actual_access:  read_only
        .address_space:  global
        .offset:         56
        .size:           8
        .value_kind:     global_buffer
      - .offset:         64
        .size:           16
        .value_kind:     by_value
      - .address_space:  global
        .offset:         80
        .size:           8
        .value_kind:     global_buffer
      - .offset:         88
        .size:           4
        .value_kind:     by_value
      - .offset:         92
        .size:           1
        .value_kind:     by_value
    .group_segment_fixed_size: 1792
    .kernarg_segment_align: 8
    .kernarg_segment_size: 96
    .language:       OpenCL C
    .language_version:
      - 2
      - 0
    .max_flat_workgroup_size: 56
    .name:           _ZN9rocsparseL22gebsrmvn_mxn_16_kernelILj56ELj14ELj1E21rocsparse_complex_numIdEEEvi20rocsparse_direction_NS_24const_host_device_scalarIT2_EEPKiS8_PKS5_iiSA_S6_PS5_21rocsparse_index_base_b
    .private_segment_fixed_size: 0
    .sgpr_count:     20
    .sgpr_spill_count: 0
    .symbol:         _ZN9rocsparseL22gebsrmvn_mxn_16_kernelILj56ELj14ELj1E21rocsparse_complex_numIdEEEvi20rocsparse_direction_NS_24const_host_device_scalarIT2_EEPKiS8_PKS5_iiSA_S6_PS5_21rocsparse_index_base_b.kd
    .uniform_work_group_size: 1
    .uses_dynamic_stack: false
    .vgpr_count:     26
    .vgpr_spill_count: 0
    .wavefront_size: 32
    .workgroup_processor_mode: 1
  - .args:
      - .offset:         0
        .size:           4
        .value_kind:     by_value
      - .offset:         4
        .size:           4
        .value_kind:     by_value
      - .offset:         8
        .size:           16
        .value_kind:     by_value
      - .actual_access:  read_only
        .address_space:  global
        .offset:         24
        .size:           8
        .value_kind:     global_buffer
      - .actual_access:  read_only
        .address_space:  global
        .offset:         32
        .size:           8
        .value_kind:     global_buffer
      - .actual_access:  read_only
        .address_space:  global
        .offset:         40
        .size:           8
        .value_kind:     global_buffer
      - .offset:         48
        .size:           4
        .value_kind:     by_value
      - .offset:         52
        .size:           4
        .value_kind:     by_value
      - .actual_access:  read_only
        .address_space:  global
        .offset:         56
        .size:           8
        .value_kind:     global_buffer
      - .offset:         64
        .size:           16
        .value_kind:     by_value
      - .address_space:  global
        .offset:         80
        .size:           8
        .value_kind:     global_buffer
      - .offset:         88
        .size:           4
        .value_kind:     by_value
      - .offset:         92
        .size:           1
        .value_kind:     by_value
    .group_segment_fixed_size: 1792
    .kernarg_segment_align: 8
    .kernarg_segment_size: 96
    .language:       OpenCL C
    .language_version:
      - 2
      - 0
    .max_flat_workgroup_size: 56
    .name:           _ZN9rocsparseL22gebsrmvn_mxn_16_kernelILj56ELj14ELj2E21rocsparse_complex_numIdEEEvi20rocsparse_direction_NS_24const_host_device_scalarIT2_EEPKiS8_PKS5_iiSA_S6_PS5_21rocsparse_index_base_b
    .private_segment_fixed_size: 0
    .sgpr_count:     20
    .sgpr_spill_count: 0
    .symbol:         _ZN9rocsparseL22gebsrmvn_mxn_16_kernelILj56ELj14ELj2E21rocsparse_complex_numIdEEEvi20rocsparse_direction_NS_24const_host_device_scalarIT2_EEPKiS8_PKS5_iiSA_S6_PS5_21rocsparse_index_base_b.kd
    .uniform_work_group_size: 1
    .uses_dynamic_stack: false
    .vgpr_count:     28
    .vgpr_spill_count: 0
    .wavefront_size: 32
    .workgroup_processor_mode: 1
  - .args:
      - .offset:         0
        .size:           4
        .value_kind:     by_value
      - .offset:         4
        .size:           4
        .value_kind:     by_value
      - .offset:         8
        .size:           16
        .value_kind:     by_value
      - .actual_access:  read_only
        .address_space:  global
        .offset:         24
        .size:           8
        .value_kind:     global_buffer
      - .actual_access:  read_only
        .address_space:  global
        .offset:         32
        .size:           8
        .value_kind:     global_buffer
      - .actual_access:  read_only
        .address_space:  global
        .offset:         40
        .size:           8
        .value_kind:     global_buffer
      - .offset:         48
        .size:           4
        .value_kind:     by_value
      - .offset:         52
        .size:           4
        .value_kind:     by_value
      - .actual_access:  read_only
        .address_space:  global
        .offset:         56
        .size:           8
        .value_kind:     global_buffer
      - .offset:         64
        .size:           16
        .value_kind:     by_value
      - .address_space:  global
        .offset:         80
        .size:           8
        .value_kind:     global_buffer
      - .offset:         88
        .size:           4
        .value_kind:     by_value
      - .offset:         92
        .size:           1
        .value_kind:     by_value
    .group_segment_fixed_size: 1344
    .kernarg_segment_align: 8
    .kernarg_segment_size: 96
    .language:       OpenCL C
    .language_version:
      - 2
      - 0
    .max_flat_workgroup_size: 42
    .name:           _ZN9rocsparseL22gebsrmvn_mxn_16_kernelILj42ELj14ELj3E21rocsparse_complex_numIdEEEvi20rocsparse_direction_NS_24const_host_device_scalarIT2_EEPKiS8_PKS5_iiSA_S6_PS5_21rocsparse_index_base_b
    .private_segment_fixed_size: 0
    .sgpr_count:     20
    .sgpr_spill_count: 0
    .symbol:         _ZN9rocsparseL22gebsrmvn_mxn_16_kernelILj42ELj14ELj3E21rocsparse_complex_numIdEEEvi20rocsparse_direction_NS_24const_host_device_scalarIT2_EEPKiS8_PKS5_iiSA_S6_PS5_21rocsparse_index_base_b.kd
    .uniform_work_group_size: 1
    .uses_dynamic_stack: false
    .vgpr_count:     28
    .vgpr_spill_count: 0
    .wavefront_size: 32
    .workgroup_processor_mode: 1
  - .args:
      - .offset:         0
        .size:           4
        .value_kind:     by_value
      - .offset:         4
        .size:           4
        .value_kind:     by_value
      - .offset:         8
        .size:           16
        .value_kind:     by_value
      - .actual_access:  read_only
        .address_space:  global
        .offset:         24
        .size:           8
        .value_kind:     global_buffer
      - .actual_access:  read_only
        .address_space:  global
        .offset:         32
        .size:           8
        .value_kind:     global_buffer
      - .actual_access:  read_only
        .address_space:  global
        .offset:         40
        .size:           8
        .value_kind:     global_buffer
      - .offset:         48
        .size:           4
        .value_kind:     by_value
      - .offset:         52
        .size:           4
        .value_kind:     by_value
      - .actual_access:  read_only
        .address_space:  global
        .offset:         56
        .size:           8
        .value_kind:     global_buffer
      - .offset:         64
        .size:           16
        .value_kind:     by_value
      - .address_space:  global
        .offset:         80
        .size:           8
        .value_kind:     global_buffer
      - .offset:         88
        .size:           4
        .value_kind:     by_value
      - .offset:         92
        .size:           1
        .value_kind:     by_value
    .group_segment_fixed_size: 1792
    .kernarg_segment_align: 8
    .kernarg_segment_size: 96
    .language:       OpenCL C
    .language_version:
      - 2
      - 0
    .max_flat_workgroup_size: 56
    .name:           _ZN9rocsparseL22gebsrmvn_mxn_16_kernelILj56ELj14ELj4E21rocsparse_complex_numIdEEEvi20rocsparse_direction_NS_24const_host_device_scalarIT2_EEPKiS8_PKS5_iiSA_S6_PS5_21rocsparse_index_base_b
    .private_segment_fixed_size: 0
    .sgpr_count:     20
    .sgpr_spill_count: 0
    .symbol:         _ZN9rocsparseL22gebsrmvn_mxn_16_kernelILj56ELj14ELj4E21rocsparse_complex_numIdEEEvi20rocsparse_direction_NS_24const_host_device_scalarIT2_EEPKiS8_PKS5_iiSA_S6_PS5_21rocsparse_index_base_b.kd
    .uniform_work_group_size: 1
    .uses_dynamic_stack: false
    .vgpr_count:     28
    .vgpr_spill_count: 0
    .wavefront_size: 32
    .workgroup_processor_mode: 1
  - .args:
      - .offset:         0
        .size:           4
        .value_kind:     by_value
      - .offset:         4
        .size:           4
        .value_kind:     by_value
      - .offset:         8
        .size:           16
        .value_kind:     by_value
      - .actual_access:  read_only
        .address_space:  global
        .offset:         24
        .size:           8
        .value_kind:     global_buffer
      - .actual_access:  read_only
        .address_space:  global
        .offset:         32
        .size:           8
        .value_kind:     global_buffer
      - .actual_access:  read_only
        .address_space:  global
        .offset:         40
        .size:           8
        .value_kind:     global_buffer
      - .offset:         48
        .size:           4
        .value_kind:     by_value
      - .offset:         52
        .size:           4
        .value_kind:     by_value
      - .actual_access:  read_only
        .address_space:  global
        .offset:         56
        .size:           8
        .value_kind:     global_buffer
      - .offset:         64
        .size:           16
        .value_kind:     by_value
      - .address_space:  global
        .offset:         80
        .size:           8
        .value_kind:     global_buffer
      - .offset:         88
        .size:           4
        .value_kind:     by_value
      - .offset:         92
        .size:           1
        .value_kind:     by_value
    .group_segment_fixed_size: 2240
    .kernarg_segment_align: 8
    .kernarg_segment_size: 96
    .language:       OpenCL C
    .language_version:
      - 2
      - 0
    .max_flat_workgroup_size: 70
    .name:           _ZN9rocsparseL22gebsrmvn_mxn_16_kernelILj70ELj14ELj5E21rocsparse_complex_numIdEEEvi20rocsparse_direction_NS_24const_host_device_scalarIT2_EEPKiS8_PKS5_iiSA_S6_PS5_21rocsparse_index_base_b
    .private_segment_fixed_size: 0
    .sgpr_count:     20
    .sgpr_spill_count: 0
    .symbol:         _ZN9rocsparseL22gebsrmvn_mxn_16_kernelILj70ELj14ELj5E21rocsparse_complex_numIdEEEvi20rocsparse_direction_NS_24const_host_device_scalarIT2_EEPKiS8_PKS5_iiSA_S6_PS5_21rocsparse_index_base_b.kd
    .uniform_work_group_size: 1
    .uses_dynamic_stack: false
    .vgpr_count:     28
    .vgpr_spill_count: 0
    .wavefront_size: 32
    .workgroup_processor_mode: 1
  - .args:
      - .offset:         0
        .size:           4
        .value_kind:     by_value
      - .offset:         4
        .size:           4
        .value_kind:     by_value
      - .offset:         8
        .size:           16
        .value_kind:     by_value
      - .actual_access:  read_only
        .address_space:  global
        .offset:         24
        .size:           8
        .value_kind:     global_buffer
      - .actual_access:  read_only
        .address_space:  global
        .offset:         32
        .size:           8
        .value_kind:     global_buffer
      - .actual_access:  read_only
        .address_space:  global
        .offset:         40
        .size:           8
        .value_kind:     global_buffer
      - .offset:         48
        .size:           4
        .value_kind:     by_value
      - .offset:         52
        .size:           4
        .value_kind:     by_value
      - .actual_access:  read_only
        .address_space:  global
        .offset:         56
        .size:           8
        .value_kind:     global_buffer
      - .offset:         64
        .size:           16
        .value_kind:     by_value
      - .address_space:  global
        .offset:         80
        .size:           8
        .value_kind:     global_buffer
      - .offset:         88
        .size:           4
        .value_kind:     by_value
      - .offset:         92
        .size:           1
        .value_kind:     by_value
    .group_segment_fixed_size: 2688
    .kernarg_segment_align: 8
    .kernarg_segment_size: 96
    .language:       OpenCL C
    .language_version:
      - 2
      - 0
    .max_flat_workgroup_size: 84
    .name:           _ZN9rocsparseL22gebsrmvn_mxn_16_kernelILj84ELj14ELj6E21rocsparse_complex_numIdEEEvi20rocsparse_direction_NS_24const_host_device_scalarIT2_EEPKiS8_PKS5_iiSA_S6_PS5_21rocsparse_index_base_b
    .private_segment_fixed_size: 0
    .sgpr_count:     20
    .sgpr_spill_count: 0
    .symbol:         _ZN9rocsparseL22gebsrmvn_mxn_16_kernelILj84ELj14ELj6E21rocsparse_complex_numIdEEEvi20rocsparse_direction_NS_24const_host_device_scalarIT2_EEPKiS8_PKS5_iiSA_S6_PS5_21rocsparse_index_base_b.kd
    .uniform_work_group_size: 1
    .uses_dynamic_stack: false
    .vgpr_count:     28
    .vgpr_spill_count: 0
    .wavefront_size: 32
    .workgroup_processor_mode: 1
  - .args:
      - .offset:         0
        .size:           4
        .value_kind:     by_value
      - .offset:         4
        .size:           4
        .value_kind:     by_value
      - .offset:         8
        .size:           16
        .value_kind:     by_value
      - .actual_access:  read_only
        .address_space:  global
        .offset:         24
        .size:           8
        .value_kind:     global_buffer
      - .actual_access:  read_only
        .address_space:  global
        .offset:         32
        .size:           8
        .value_kind:     global_buffer
      - .actual_access:  read_only
        .address_space:  global
        .offset:         40
        .size:           8
        .value_kind:     global_buffer
      - .offset:         48
        .size:           4
        .value_kind:     by_value
      - .offset:         52
        .size:           4
        .value_kind:     by_value
      - .actual_access:  read_only
        .address_space:  global
        .offset:         56
        .size:           8
        .value_kind:     global_buffer
      - .offset:         64
        .size:           16
        .value_kind:     by_value
      - .address_space:  global
        .offset:         80
        .size:           8
        .value_kind:     global_buffer
      - .offset:         88
        .size:           4
        .value_kind:     by_value
      - .offset:         92
        .size:           1
        .value_kind:     by_value
    .group_segment_fixed_size: 3136
    .kernarg_segment_align: 8
    .kernarg_segment_size: 96
    .language:       OpenCL C
    .language_version:
      - 2
      - 0
    .max_flat_workgroup_size: 98
    .name:           _ZN9rocsparseL22gebsrmvn_mxn_16_kernelILj98ELj14ELj7E21rocsparse_complex_numIdEEEvi20rocsparse_direction_NS_24const_host_device_scalarIT2_EEPKiS8_PKS5_iiSA_S6_PS5_21rocsparse_index_base_b
    .private_segment_fixed_size: 0
    .sgpr_count:     20
    .sgpr_spill_count: 0
    .symbol:         _ZN9rocsparseL22gebsrmvn_mxn_16_kernelILj98ELj14ELj7E21rocsparse_complex_numIdEEEvi20rocsparse_direction_NS_24const_host_device_scalarIT2_EEPKiS8_PKS5_iiSA_S6_PS5_21rocsparse_index_base_b.kd
    .uniform_work_group_size: 1
    .uses_dynamic_stack: false
    .vgpr_count:     28
    .vgpr_spill_count: 0
    .wavefront_size: 32
    .workgroup_processor_mode: 1
  - .args:
      - .offset:         0
        .size:           4
        .value_kind:     by_value
      - .offset:         4
        .size:           4
        .value_kind:     by_value
      - .offset:         8
        .size:           16
        .value_kind:     by_value
      - .actual_access:  read_only
        .address_space:  global
        .offset:         24
        .size:           8
        .value_kind:     global_buffer
      - .actual_access:  read_only
        .address_space:  global
        .offset:         32
        .size:           8
        .value_kind:     global_buffer
      - .actual_access:  read_only
        .address_space:  global
        .offset:         40
        .size:           8
        .value_kind:     global_buffer
      - .offset:         48
        .size:           4
        .value_kind:     by_value
      - .offset:         52
        .size:           4
        .value_kind:     by_value
      - .actual_access:  read_only
        .address_space:  global
        .offset:         56
        .size:           8
        .value_kind:     global_buffer
      - .offset:         64
        .size:           16
        .value_kind:     by_value
      - .address_space:  global
        .offset:         80
        .size:           8
        .value_kind:     global_buffer
      - .offset:         88
        .size:           4
        .value_kind:     by_value
      - .offset:         92
        .size:           1
        .value_kind:     by_value
    .group_segment_fixed_size: 3584
    .kernarg_segment_align: 8
    .kernarg_segment_size: 96
    .language:       OpenCL C
    .language_version:
      - 2
      - 0
    .max_flat_workgroup_size: 112
    .name:           _ZN9rocsparseL22gebsrmvn_mxn_16_kernelILj112ELj14ELj8E21rocsparse_complex_numIdEEEvi20rocsparse_direction_NS_24const_host_device_scalarIT2_EEPKiS8_PKS5_iiSA_S6_PS5_21rocsparse_index_base_b
    .private_segment_fixed_size: 0
    .sgpr_count:     20
    .sgpr_spill_count: 0
    .symbol:         _ZN9rocsparseL22gebsrmvn_mxn_16_kernelILj112ELj14ELj8E21rocsparse_complex_numIdEEEvi20rocsparse_direction_NS_24const_host_device_scalarIT2_EEPKiS8_PKS5_iiSA_S6_PS5_21rocsparse_index_base_b.kd
    .uniform_work_group_size: 1
    .uses_dynamic_stack: false
    .vgpr_count:     28
    .vgpr_spill_count: 0
    .wavefront_size: 32
    .workgroup_processor_mode: 1
  - .args:
      - .offset:         0
        .size:           4
        .value_kind:     by_value
      - .offset:         4
        .size:           4
        .value_kind:     by_value
      - .offset:         8
        .size:           16
        .value_kind:     by_value
      - .actual_access:  read_only
        .address_space:  global
        .offset:         24
        .size:           8
        .value_kind:     global_buffer
      - .actual_access:  read_only
        .address_space:  global
        .offset:         32
        .size:           8
        .value_kind:     global_buffer
      - .actual_access:  read_only
        .address_space:  global
        .offset:         40
        .size:           8
        .value_kind:     global_buffer
      - .offset:         48
        .size:           4
        .value_kind:     by_value
      - .offset:         52
        .size:           4
        .value_kind:     by_value
      - .actual_access:  read_only
        .address_space:  global
        .offset:         56
        .size:           8
        .value_kind:     global_buffer
      - .offset:         64
        .size:           16
        .value_kind:     by_value
      - .address_space:  global
        .offset:         80
        .size:           8
        .value_kind:     global_buffer
      - .offset:         88
        .size:           4
        .value_kind:     by_value
      - .offset:         92
        .size:           1
        .value_kind:     by_value
    .group_segment_fixed_size: 1920
    .kernarg_segment_align: 8
    .kernarg_segment_size: 96
    .language:       OpenCL C
    .language_version:
      - 2
      - 0
    .max_flat_workgroup_size: 60
    .name:           _ZN9rocsparseL22gebsrmvn_mxn_16_kernelILj60ELj15ELj1E21rocsparse_complex_numIdEEEvi20rocsparse_direction_NS_24const_host_device_scalarIT2_EEPKiS8_PKS5_iiSA_S6_PS5_21rocsparse_index_base_b
    .private_segment_fixed_size: 0
    .sgpr_count:     20
    .sgpr_spill_count: 0
    .symbol:         _ZN9rocsparseL22gebsrmvn_mxn_16_kernelILj60ELj15ELj1E21rocsparse_complex_numIdEEEvi20rocsparse_direction_NS_24const_host_device_scalarIT2_EEPKiS8_PKS5_iiSA_S6_PS5_21rocsparse_index_base_b.kd
    .uniform_work_group_size: 1
    .uses_dynamic_stack: false
    .vgpr_count:     26
    .vgpr_spill_count: 0
    .wavefront_size: 32
    .workgroup_processor_mode: 1
  - .args:
      - .offset:         0
        .size:           4
        .value_kind:     by_value
      - .offset:         4
        .size:           4
        .value_kind:     by_value
      - .offset:         8
        .size:           16
        .value_kind:     by_value
      - .actual_access:  read_only
        .address_space:  global
        .offset:         24
        .size:           8
        .value_kind:     global_buffer
      - .actual_access:  read_only
        .address_space:  global
        .offset:         32
        .size:           8
        .value_kind:     global_buffer
      - .actual_access:  read_only
        .address_space:  global
        .offset:         40
        .size:           8
        .value_kind:     global_buffer
      - .offset:         48
        .size:           4
        .value_kind:     by_value
      - .offset:         52
        .size:           4
        .value_kind:     by_value
      - .actual_access:  read_only
        .address_space:  global
        .offset:         56
        .size:           8
        .value_kind:     global_buffer
      - .offset:         64
        .size:           16
        .value_kind:     by_value
      - .address_space:  global
        .offset:         80
        .size:           8
        .value_kind:     global_buffer
      - .offset:         88
        .size:           4
        .value_kind:     by_value
      - .offset:         92
        .size:           1
        .value_kind:     by_value
    .group_segment_fixed_size: 1920
    .kernarg_segment_align: 8
    .kernarg_segment_size: 96
    .language:       OpenCL C
    .language_version:
      - 2
      - 0
    .max_flat_workgroup_size: 60
    .name:           _ZN9rocsparseL22gebsrmvn_mxn_16_kernelILj60ELj15ELj2E21rocsparse_complex_numIdEEEvi20rocsparse_direction_NS_24const_host_device_scalarIT2_EEPKiS8_PKS5_iiSA_S6_PS5_21rocsparse_index_base_b
    .private_segment_fixed_size: 0
    .sgpr_count:     20
    .sgpr_spill_count: 0
    .symbol:         _ZN9rocsparseL22gebsrmvn_mxn_16_kernelILj60ELj15ELj2E21rocsparse_complex_numIdEEEvi20rocsparse_direction_NS_24const_host_device_scalarIT2_EEPKiS8_PKS5_iiSA_S6_PS5_21rocsparse_index_base_b.kd
    .uniform_work_group_size: 1
    .uses_dynamic_stack: false
    .vgpr_count:     28
    .vgpr_spill_count: 0
    .wavefront_size: 32
    .workgroup_processor_mode: 1
  - .args:
      - .offset:         0
        .size:           4
        .value_kind:     by_value
      - .offset:         4
        .size:           4
        .value_kind:     by_value
      - .offset:         8
        .size:           16
        .value_kind:     by_value
      - .actual_access:  read_only
        .address_space:  global
        .offset:         24
        .size:           8
        .value_kind:     global_buffer
      - .actual_access:  read_only
        .address_space:  global
        .offset:         32
        .size:           8
        .value_kind:     global_buffer
      - .actual_access:  read_only
        .address_space:  global
        .offset:         40
        .size:           8
        .value_kind:     global_buffer
      - .offset:         48
        .size:           4
        .value_kind:     by_value
      - .offset:         52
        .size:           4
        .value_kind:     by_value
      - .actual_access:  read_only
        .address_space:  global
        .offset:         56
        .size:           8
        .value_kind:     global_buffer
      - .offset:         64
        .size:           16
        .value_kind:     by_value
      - .address_space:  global
        .offset:         80
        .size:           8
        .value_kind:     global_buffer
      - .offset:         88
        .size:           4
        .value_kind:     by_value
      - .offset:         92
        .size:           1
        .value_kind:     by_value
    .group_segment_fixed_size: 1440
    .kernarg_segment_align: 8
    .kernarg_segment_size: 96
    .language:       OpenCL C
    .language_version:
      - 2
      - 0
    .max_flat_workgroup_size: 45
    .name:           _ZN9rocsparseL22gebsrmvn_mxn_16_kernelILj45ELj15ELj3E21rocsparse_complex_numIdEEEvi20rocsparse_direction_NS_24const_host_device_scalarIT2_EEPKiS8_PKS5_iiSA_S6_PS5_21rocsparse_index_base_b
    .private_segment_fixed_size: 0
    .sgpr_count:     20
    .sgpr_spill_count: 0
    .symbol:         _ZN9rocsparseL22gebsrmvn_mxn_16_kernelILj45ELj15ELj3E21rocsparse_complex_numIdEEEvi20rocsparse_direction_NS_24const_host_device_scalarIT2_EEPKiS8_PKS5_iiSA_S6_PS5_21rocsparse_index_base_b.kd
    .uniform_work_group_size: 1
    .uses_dynamic_stack: false
    .vgpr_count:     28
    .vgpr_spill_count: 0
    .wavefront_size: 32
    .workgroup_processor_mode: 1
  - .args:
      - .offset:         0
        .size:           4
        .value_kind:     by_value
      - .offset:         4
        .size:           4
        .value_kind:     by_value
      - .offset:         8
        .size:           16
        .value_kind:     by_value
      - .actual_access:  read_only
        .address_space:  global
        .offset:         24
        .size:           8
        .value_kind:     global_buffer
      - .actual_access:  read_only
        .address_space:  global
        .offset:         32
        .size:           8
        .value_kind:     global_buffer
      - .actual_access:  read_only
        .address_space:  global
        .offset:         40
        .size:           8
        .value_kind:     global_buffer
      - .offset:         48
        .size:           4
        .value_kind:     by_value
      - .offset:         52
        .size:           4
        .value_kind:     by_value
      - .actual_access:  read_only
        .address_space:  global
        .offset:         56
        .size:           8
        .value_kind:     global_buffer
      - .offset:         64
        .size:           16
        .value_kind:     by_value
      - .address_space:  global
        .offset:         80
        .size:           8
        .value_kind:     global_buffer
      - .offset:         88
        .size:           4
        .value_kind:     by_value
      - .offset:         92
        .size:           1
        .value_kind:     by_value
    .group_segment_fixed_size: 1920
    .kernarg_segment_align: 8
    .kernarg_segment_size: 96
    .language:       OpenCL C
    .language_version:
      - 2
      - 0
    .max_flat_workgroup_size: 60
    .name:           _ZN9rocsparseL22gebsrmvn_mxn_16_kernelILj60ELj15ELj4E21rocsparse_complex_numIdEEEvi20rocsparse_direction_NS_24const_host_device_scalarIT2_EEPKiS8_PKS5_iiSA_S6_PS5_21rocsparse_index_base_b
    .private_segment_fixed_size: 0
    .sgpr_count:     20
    .sgpr_spill_count: 0
    .symbol:         _ZN9rocsparseL22gebsrmvn_mxn_16_kernelILj60ELj15ELj4E21rocsparse_complex_numIdEEEvi20rocsparse_direction_NS_24const_host_device_scalarIT2_EEPKiS8_PKS5_iiSA_S6_PS5_21rocsparse_index_base_b.kd
    .uniform_work_group_size: 1
    .uses_dynamic_stack: false
    .vgpr_count:     28
    .vgpr_spill_count: 0
    .wavefront_size: 32
    .workgroup_processor_mode: 1
  - .args:
      - .offset:         0
        .size:           4
        .value_kind:     by_value
      - .offset:         4
        .size:           4
        .value_kind:     by_value
      - .offset:         8
        .size:           16
        .value_kind:     by_value
      - .actual_access:  read_only
        .address_space:  global
        .offset:         24
        .size:           8
        .value_kind:     global_buffer
      - .actual_access:  read_only
        .address_space:  global
        .offset:         32
        .size:           8
        .value_kind:     global_buffer
      - .actual_access:  read_only
        .address_space:  global
        .offset:         40
        .size:           8
        .value_kind:     global_buffer
      - .offset:         48
        .size:           4
        .value_kind:     by_value
      - .offset:         52
        .size:           4
        .value_kind:     by_value
      - .actual_access:  read_only
        .address_space:  global
        .offset:         56
        .size:           8
        .value_kind:     global_buffer
      - .offset:         64
        .size:           16
        .value_kind:     by_value
      - .address_space:  global
        .offset:         80
        .size:           8
        .value_kind:     global_buffer
      - .offset:         88
        .size:           4
        .value_kind:     by_value
      - .offset:         92
        .size:           1
        .value_kind:     by_value
    .group_segment_fixed_size: 2400
    .kernarg_segment_align: 8
    .kernarg_segment_size: 96
    .language:       OpenCL C
    .language_version:
      - 2
      - 0
    .max_flat_workgroup_size: 75
    .name:           _ZN9rocsparseL22gebsrmvn_mxn_16_kernelILj75ELj15ELj5E21rocsparse_complex_numIdEEEvi20rocsparse_direction_NS_24const_host_device_scalarIT2_EEPKiS8_PKS5_iiSA_S6_PS5_21rocsparse_index_base_b
    .private_segment_fixed_size: 0
    .sgpr_count:     20
    .sgpr_spill_count: 0
    .symbol:         _ZN9rocsparseL22gebsrmvn_mxn_16_kernelILj75ELj15ELj5E21rocsparse_complex_numIdEEEvi20rocsparse_direction_NS_24const_host_device_scalarIT2_EEPKiS8_PKS5_iiSA_S6_PS5_21rocsparse_index_base_b.kd
    .uniform_work_group_size: 1
    .uses_dynamic_stack: false
    .vgpr_count:     28
    .vgpr_spill_count: 0
    .wavefront_size: 32
    .workgroup_processor_mode: 1
  - .args:
      - .offset:         0
        .size:           4
        .value_kind:     by_value
      - .offset:         4
        .size:           4
        .value_kind:     by_value
      - .offset:         8
        .size:           16
        .value_kind:     by_value
      - .actual_access:  read_only
        .address_space:  global
        .offset:         24
        .size:           8
        .value_kind:     global_buffer
      - .actual_access:  read_only
        .address_space:  global
        .offset:         32
        .size:           8
        .value_kind:     global_buffer
      - .actual_access:  read_only
        .address_space:  global
        .offset:         40
        .size:           8
        .value_kind:     global_buffer
      - .offset:         48
        .size:           4
        .value_kind:     by_value
      - .offset:         52
        .size:           4
        .value_kind:     by_value
      - .actual_access:  read_only
        .address_space:  global
        .offset:         56
        .size:           8
        .value_kind:     global_buffer
      - .offset:         64
        .size:           16
        .value_kind:     by_value
      - .address_space:  global
        .offset:         80
        .size:           8
        .value_kind:     global_buffer
      - .offset:         88
        .size:           4
        .value_kind:     by_value
      - .offset:         92
        .size:           1
        .value_kind:     by_value
    .group_segment_fixed_size: 2880
    .kernarg_segment_align: 8
    .kernarg_segment_size: 96
    .language:       OpenCL C
    .language_version:
      - 2
      - 0
    .max_flat_workgroup_size: 90
    .name:           _ZN9rocsparseL22gebsrmvn_mxn_16_kernelILj90ELj15ELj6E21rocsparse_complex_numIdEEEvi20rocsparse_direction_NS_24const_host_device_scalarIT2_EEPKiS8_PKS5_iiSA_S6_PS5_21rocsparse_index_base_b
    .private_segment_fixed_size: 0
    .sgpr_count:     20
    .sgpr_spill_count: 0
    .symbol:         _ZN9rocsparseL22gebsrmvn_mxn_16_kernelILj90ELj15ELj6E21rocsparse_complex_numIdEEEvi20rocsparse_direction_NS_24const_host_device_scalarIT2_EEPKiS8_PKS5_iiSA_S6_PS5_21rocsparse_index_base_b.kd
    .uniform_work_group_size: 1
    .uses_dynamic_stack: false
    .vgpr_count:     28
    .vgpr_spill_count: 0
    .wavefront_size: 32
    .workgroup_processor_mode: 1
  - .args:
      - .offset:         0
        .size:           4
        .value_kind:     by_value
      - .offset:         4
        .size:           4
        .value_kind:     by_value
      - .offset:         8
        .size:           16
        .value_kind:     by_value
      - .actual_access:  read_only
        .address_space:  global
        .offset:         24
        .size:           8
        .value_kind:     global_buffer
      - .actual_access:  read_only
        .address_space:  global
        .offset:         32
        .size:           8
        .value_kind:     global_buffer
      - .actual_access:  read_only
        .address_space:  global
        .offset:         40
        .size:           8
        .value_kind:     global_buffer
      - .offset:         48
        .size:           4
        .value_kind:     by_value
      - .offset:         52
        .size:           4
        .value_kind:     by_value
      - .actual_access:  read_only
        .address_space:  global
        .offset:         56
        .size:           8
        .value_kind:     global_buffer
      - .offset:         64
        .size:           16
        .value_kind:     by_value
      - .address_space:  global
        .offset:         80
        .size:           8
        .value_kind:     global_buffer
      - .offset:         88
        .size:           4
        .value_kind:     by_value
      - .offset:         92
        .size:           1
        .value_kind:     by_value
    .group_segment_fixed_size: 3360
    .kernarg_segment_align: 8
    .kernarg_segment_size: 96
    .language:       OpenCL C
    .language_version:
      - 2
      - 0
    .max_flat_workgroup_size: 105
    .name:           _ZN9rocsparseL22gebsrmvn_mxn_16_kernelILj105ELj15ELj7E21rocsparse_complex_numIdEEEvi20rocsparse_direction_NS_24const_host_device_scalarIT2_EEPKiS8_PKS5_iiSA_S6_PS5_21rocsparse_index_base_b
    .private_segment_fixed_size: 0
    .sgpr_count:     20
    .sgpr_spill_count: 0
    .symbol:         _ZN9rocsparseL22gebsrmvn_mxn_16_kernelILj105ELj15ELj7E21rocsparse_complex_numIdEEEvi20rocsparse_direction_NS_24const_host_device_scalarIT2_EEPKiS8_PKS5_iiSA_S6_PS5_21rocsparse_index_base_b.kd
    .uniform_work_group_size: 1
    .uses_dynamic_stack: false
    .vgpr_count:     28
    .vgpr_spill_count: 0
    .wavefront_size: 32
    .workgroup_processor_mode: 1
  - .args:
      - .offset:         0
        .size:           4
        .value_kind:     by_value
      - .offset:         4
        .size:           4
        .value_kind:     by_value
      - .offset:         8
        .size:           16
        .value_kind:     by_value
      - .actual_access:  read_only
        .address_space:  global
        .offset:         24
        .size:           8
        .value_kind:     global_buffer
      - .actual_access:  read_only
        .address_space:  global
        .offset:         32
        .size:           8
        .value_kind:     global_buffer
      - .actual_access:  read_only
        .address_space:  global
        .offset:         40
        .size:           8
        .value_kind:     global_buffer
      - .offset:         48
        .size:           4
        .value_kind:     by_value
      - .offset:         52
        .size:           4
        .value_kind:     by_value
      - .actual_access:  read_only
        .address_space:  global
        .offset:         56
        .size:           8
        .value_kind:     global_buffer
      - .offset:         64
        .size:           16
        .value_kind:     by_value
      - .address_space:  global
        .offset:         80
        .size:           8
        .value_kind:     global_buffer
      - .offset:         88
        .size:           4
        .value_kind:     by_value
      - .offset:         92
        .size:           1
        .value_kind:     by_value
    .group_segment_fixed_size: 3840
    .kernarg_segment_align: 8
    .kernarg_segment_size: 96
    .language:       OpenCL C
    .language_version:
      - 2
      - 0
    .max_flat_workgroup_size: 120
    .name:           _ZN9rocsparseL22gebsrmvn_mxn_16_kernelILj120ELj15ELj8E21rocsparse_complex_numIdEEEvi20rocsparse_direction_NS_24const_host_device_scalarIT2_EEPKiS8_PKS5_iiSA_S6_PS5_21rocsparse_index_base_b
    .private_segment_fixed_size: 0
    .sgpr_count:     20
    .sgpr_spill_count: 0
    .symbol:         _ZN9rocsparseL22gebsrmvn_mxn_16_kernelILj120ELj15ELj8E21rocsparse_complex_numIdEEEvi20rocsparse_direction_NS_24const_host_device_scalarIT2_EEPKiS8_PKS5_iiSA_S6_PS5_21rocsparse_index_base_b.kd
    .uniform_work_group_size: 1
    .uses_dynamic_stack: false
    .vgpr_count:     28
    .vgpr_spill_count: 0
    .wavefront_size: 32
    .workgroup_processor_mode: 1
  - .args:
      - .offset:         0
        .size:           4
        .value_kind:     by_value
      - .offset:         4
        .size:           4
        .value_kind:     by_value
      - .offset:         8
        .size:           16
        .value_kind:     by_value
      - .actual_access:  read_only
        .address_space:  global
        .offset:         24
        .size:           8
        .value_kind:     global_buffer
      - .actual_access:  read_only
        .address_space:  global
        .offset:         32
        .size:           8
        .value_kind:     global_buffer
      - .actual_access:  read_only
        .address_space:  global
        .offset:         40
        .size:           8
        .value_kind:     global_buffer
      - .offset:         48
        .size:           4
        .value_kind:     by_value
      - .offset:         52
        .size:           4
        .value_kind:     by_value
      - .actual_access:  read_only
        .address_space:  global
        .offset:         56
        .size:           8
        .value_kind:     global_buffer
      - .offset:         64
        .size:           16
        .value_kind:     by_value
      - .address_space:  global
        .offset:         80
        .size:           8
        .value_kind:     global_buffer
      - .offset:         88
        .size:           4
        .value_kind:     by_value
      - .offset:         92
        .size:           1
        .value_kind:     by_value
    .group_segment_fixed_size: 2048
    .kernarg_segment_align: 8
    .kernarg_segment_size: 96
    .language:       OpenCL C
    .language_version:
      - 2
      - 0
    .max_flat_workgroup_size: 64
    .name:           _ZN9rocsparseL22gebsrmvn_mxn_16_kernelILj64ELj16ELj1E21rocsparse_complex_numIdEEEvi20rocsparse_direction_NS_24const_host_device_scalarIT2_EEPKiS8_PKS5_iiSA_S6_PS5_21rocsparse_index_base_b
    .private_segment_fixed_size: 0
    .sgpr_count:     20
    .sgpr_spill_count: 0
    .symbol:         _ZN9rocsparseL22gebsrmvn_mxn_16_kernelILj64ELj16ELj1E21rocsparse_complex_numIdEEEvi20rocsparse_direction_NS_24const_host_device_scalarIT2_EEPKiS8_PKS5_iiSA_S6_PS5_21rocsparse_index_base_b.kd
    .uniform_work_group_size: 1
    .uses_dynamic_stack: false
    .vgpr_count:     26
    .vgpr_spill_count: 0
    .wavefront_size: 32
    .workgroup_processor_mode: 1
  - .args:
      - .offset:         0
        .size:           4
        .value_kind:     by_value
      - .offset:         4
        .size:           4
        .value_kind:     by_value
      - .offset:         8
        .size:           16
        .value_kind:     by_value
      - .actual_access:  read_only
        .address_space:  global
        .offset:         24
        .size:           8
        .value_kind:     global_buffer
      - .actual_access:  read_only
        .address_space:  global
        .offset:         32
        .size:           8
        .value_kind:     global_buffer
      - .actual_access:  read_only
        .address_space:  global
        .offset:         40
        .size:           8
        .value_kind:     global_buffer
      - .offset:         48
        .size:           4
        .value_kind:     by_value
      - .offset:         52
        .size:           4
        .value_kind:     by_value
      - .actual_access:  read_only
        .address_space:  global
        .offset:         56
        .size:           8
        .value_kind:     global_buffer
      - .offset:         64
        .size:           16
        .value_kind:     by_value
      - .address_space:  global
        .offset:         80
        .size:           8
        .value_kind:     global_buffer
      - .offset:         88
        .size:           4
        .value_kind:     by_value
      - .offset:         92
        .size:           1
        .value_kind:     by_value
    .group_segment_fixed_size: 2048
    .kernarg_segment_align: 8
    .kernarg_segment_size: 96
    .language:       OpenCL C
    .language_version:
      - 2
      - 0
    .max_flat_workgroup_size: 64
    .name:           _ZN9rocsparseL22gebsrmvn_mxn_16_kernelILj64ELj16ELj2E21rocsparse_complex_numIdEEEvi20rocsparse_direction_NS_24const_host_device_scalarIT2_EEPKiS8_PKS5_iiSA_S6_PS5_21rocsparse_index_base_b
    .private_segment_fixed_size: 0
    .sgpr_count:     20
    .sgpr_spill_count: 0
    .symbol:         _ZN9rocsparseL22gebsrmvn_mxn_16_kernelILj64ELj16ELj2E21rocsparse_complex_numIdEEEvi20rocsparse_direction_NS_24const_host_device_scalarIT2_EEPKiS8_PKS5_iiSA_S6_PS5_21rocsparse_index_base_b.kd
    .uniform_work_group_size: 1
    .uses_dynamic_stack: false
    .vgpr_count:     28
    .vgpr_spill_count: 0
    .wavefront_size: 32
    .workgroup_processor_mode: 1
  - .args:
      - .offset:         0
        .size:           4
        .value_kind:     by_value
      - .offset:         4
        .size:           4
        .value_kind:     by_value
      - .offset:         8
        .size:           16
        .value_kind:     by_value
      - .actual_access:  read_only
        .address_space:  global
        .offset:         24
        .size:           8
        .value_kind:     global_buffer
      - .actual_access:  read_only
        .address_space:  global
        .offset:         32
        .size:           8
        .value_kind:     global_buffer
      - .actual_access:  read_only
        .address_space:  global
        .offset:         40
        .size:           8
        .value_kind:     global_buffer
      - .offset:         48
        .size:           4
        .value_kind:     by_value
      - .offset:         52
        .size:           4
        .value_kind:     by_value
      - .actual_access:  read_only
        .address_space:  global
        .offset:         56
        .size:           8
        .value_kind:     global_buffer
      - .offset:         64
        .size:           16
        .value_kind:     by_value
      - .address_space:  global
        .offset:         80
        .size:           8
        .value_kind:     global_buffer
      - .offset:         88
        .size:           4
        .value_kind:     by_value
      - .offset:         92
        .size:           1
        .value_kind:     by_value
    .group_segment_fixed_size: 1536
    .kernarg_segment_align: 8
    .kernarg_segment_size: 96
    .language:       OpenCL C
    .language_version:
      - 2
      - 0
    .max_flat_workgroup_size: 48
    .name:           _ZN9rocsparseL22gebsrmvn_mxn_16_kernelILj48ELj16ELj3E21rocsparse_complex_numIdEEEvi20rocsparse_direction_NS_24const_host_device_scalarIT2_EEPKiS8_PKS5_iiSA_S6_PS5_21rocsparse_index_base_b
    .private_segment_fixed_size: 0
    .sgpr_count:     20
    .sgpr_spill_count: 0
    .symbol:         _ZN9rocsparseL22gebsrmvn_mxn_16_kernelILj48ELj16ELj3E21rocsparse_complex_numIdEEEvi20rocsparse_direction_NS_24const_host_device_scalarIT2_EEPKiS8_PKS5_iiSA_S6_PS5_21rocsparse_index_base_b.kd
    .uniform_work_group_size: 1
    .uses_dynamic_stack: false
    .vgpr_count:     28
    .vgpr_spill_count: 0
    .wavefront_size: 32
    .workgroup_processor_mode: 1
  - .args:
      - .offset:         0
        .size:           4
        .value_kind:     by_value
      - .offset:         4
        .size:           4
        .value_kind:     by_value
      - .offset:         8
        .size:           16
        .value_kind:     by_value
      - .actual_access:  read_only
        .address_space:  global
        .offset:         24
        .size:           8
        .value_kind:     global_buffer
      - .actual_access:  read_only
        .address_space:  global
        .offset:         32
        .size:           8
        .value_kind:     global_buffer
      - .actual_access:  read_only
        .address_space:  global
        .offset:         40
        .size:           8
        .value_kind:     global_buffer
      - .offset:         48
        .size:           4
        .value_kind:     by_value
      - .offset:         52
        .size:           4
        .value_kind:     by_value
      - .actual_access:  read_only
        .address_space:  global
        .offset:         56
        .size:           8
        .value_kind:     global_buffer
      - .offset:         64
        .size:           16
        .value_kind:     by_value
      - .address_space:  global
        .offset:         80
        .size:           8
        .value_kind:     global_buffer
      - .offset:         88
        .size:           4
        .value_kind:     by_value
      - .offset:         92
        .size:           1
        .value_kind:     by_value
    .group_segment_fixed_size: 2048
    .kernarg_segment_align: 8
    .kernarg_segment_size: 96
    .language:       OpenCL C
    .language_version:
      - 2
      - 0
    .max_flat_workgroup_size: 64
    .name:           _ZN9rocsparseL22gebsrmvn_mxn_16_kernelILj64ELj16ELj4E21rocsparse_complex_numIdEEEvi20rocsparse_direction_NS_24const_host_device_scalarIT2_EEPKiS8_PKS5_iiSA_S6_PS5_21rocsparse_index_base_b
    .private_segment_fixed_size: 0
    .sgpr_count:     20
    .sgpr_spill_count: 0
    .symbol:         _ZN9rocsparseL22gebsrmvn_mxn_16_kernelILj64ELj16ELj4E21rocsparse_complex_numIdEEEvi20rocsparse_direction_NS_24const_host_device_scalarIT2_EEPKiS8_PKS5_iiSA_S6_PS5_21rocsparse_index_base_b.kd
    .uniform_work_group_size: 1
    .uses_dynamic_stack: false
    .vgpr_count:     26
    .vgpr_spill_count: 0
    .wavefront_size: 32
    .workgroup_processor_mode: 1
  - .args:
      - .offset:         0
        .size:           4
        .value_kind:     by_value
      - .offset:         4
        .size:           4
        .value_kind:     by_value
      - .offset:         8
        .size:           16
        .value_kind:     by_value
      - .actual_access:  read_only
        .address_space:  global
        .offset:         24
        .size:           8
        .value_kind:     global_buffer
      - .actual_access:  read_only
        .address_space:  global
        .offset:         32
        .size:           8
        .value_kind:     global_buffer
      - .actual_access:  read_only
        .address_space:  global
        .offset:         40
        .size:           8
        .value_kind:     global_buffer
      - .offset:         48
        .size:           4
        .value_kind:     by_value
      - .offset:         52
        .size:           4
        .value_kind:     by_value
      - .actual_access:  read_only
        .address_space:  global
        .offset:         56
        .size:           8
        .value_kind:     global_buffer
      - .offset:         64
        .size:           16
        .value_kind:     by_value
      - .address_space:  global
        .offset:         80
        .size:           8
        .value_kind:     global_buffer
      - .offset:         88
        .size:           4
        .value_kind:     by_value
      - .offset:         92
        .size:           1
        .value_kind:     by_value
    .group_segment_fixed_size: 2560
    .kernarg_segment_align: 8
    .kernarg_segment_size: 96
    .language:       OpenCL C
    .language_version:
      - 2
      - 0
    .max_flat_workgroup_size: 80
    .name:           _ZN9rocsparseL22gebsrmvn_mxn_16_kernelILj80ELj16ELj5E21rocsparse_complex_numIdEEEvi20rocsparse_direction_NS_24const_host_device_scalarIT2_EEPKiS8_PKS5_iiSA_S6_PS5_21rocsparse_index_base_b
    .private_segment_fixed_size: 0
    .sgpr_count:     20
    .sgpr_spill_count: 0
    .symbol:         _ZN9rocsparseL22gebsrmvn_mxn_16_kernelILj80ELj16ELj5E21rocsparse_complex_numIdEEEvi20rocsparse_direction_NS_24const_host_device_scalarIT2_EEPKiS8_PKS5_iiSA_S6_PS5_21rocsparse_index_base_b.kd
    .uniform_work_group_size: 1
    .uses_dynamic_stack: false
    .vgpr_count:     28
    .vgpr_spill_count: 0
    .wavefront_size: 32
    .workgroup_processor_mode: 1
  - .args:
      - .offset:         0
        .size:           4
        .value_kind:     by_value
      - .offset:         4
        .size:           4
        .value_kind:     by_value
      - .offset:         8
        .size:           16
        .value_kind:     by_value
      - .actual_access:  read_only
        .address_space:  global
        .offset:         24
        .size:           8
        .value_kind:     global_buffer
      - .actual_access:  read_only
        .address_space:  global
        .offset:         32
        .size:           8
        .value_kind:     global_buffer
      - .actual_access:  read_only
        .address_space:  global
        .offset:         40
        .size:           8
        .value_kind:     global_buffer
      - .offset:         48
        .size:           4
        .value_kind:     by_value
      - .offset:         52
        .size:           4
        .value_kind:     by_value
      - .actual_access:  read_only
        .address_space:  global
        .offset:         56
        .size:           8
        .value_kind:     global_buffer
      - .offset:         64
        .size:           16
        .value_kind:     by_value
      - .address_space:  global
        .offset:         80
        .size:           8
        .value_kind:     global_buffer
      - .offset:         88
        .size:           4
        .value_kind:     by_value
      - .offset:         92
        .size:           1
        .value_kind:     by_value
    .group_segment_fixed_size: 3072
    .kernarg_segment_align: 8
    .kernarg_segment_size: 96
    .language:       OpenCL C
    .language_version:
      - 2
      - 0
    .max_flat_workgroup_size: 96
    .name:           _ZN9rocsparseL22gebsrmvn_mxn_16_kernelILj96ELj16ELj6E21rocsparse_complex_numIdEEEvi20rocsparse_direction_NS_24const_host_device_scalarIT2_EEPKiS8_PKS5_iiSA_S6_PS5_21rocsparse_index_base_b
    .private_segment_fixed_size: 0
    .sgpr_count:     20
    .sgpr_spill_count: 0
    .symbol:         _ZN9rocsparseL22gebsrmvn_mxn_16_kernelILj96ELj16ELj6E21rocsparse_complex_numIdEEEvi20rocsparse_direction_NS_24const_host_device_scalarIT2_EEPKiS8_PKS5_iiSA_S6_PS5_21rocsparse_index_base_b.kd
    .uniform_work_group_size: 1
    .uses_dynamic_stack: false
    .vgpr_count:     28
    .vgpr_spill_count: 0
    .wavefront_size: 32
    .workgroup_processor_mode: 1
  - .args:
      - .offset:         0
        .size:           4
        .value_kind:     by_value
      - .offset:         4
        .size:           4
        .value_kind:     by_value
      - .offset:         8
        .size:           16
        .value_kind:     by_value
      - .actual_access:  read_only
        .address_space:  global
        .offset:         24
        .size:           8
        .value_kind:     global_buffer
      - .actual_access:  read_only
        .address_space:  global
        .offset:         32
        .size:           8
        .value_kind:     global_buffer
      - .actual_access:  read_only
        .address_space:  global
        .offset:         40
        .size:           8
        .value_kind:     global_buffer
      - .offset:         48
        .size:           4
        .value_kind:     by_value
      - .offset:         52
        .size:           4
        .value_kind:     by_value
      - .actual_access:  read_only
        .address_space:  global
        .offset:         56
        .size:           8
        .value_kind:     global_buffer
      - .offset:         64
        .size:           16
        .value_kind:     by_value
      - .address_space:  global
        .offset:         80
        .size:           8
        .value_kind:     global_buffer
      - .offset:         88
        .size:           4
        .value_kind:     by_value
      - .offset:         92
        .size:           1
        .value_kind:     by_value
    .group_segment_fixed_size: 3584
    .kernarg_segment_align: 8
    .kernarg_segment_size: 96
    .language:       OpenCL C
    .language_version:
      - 2
      - 0
    .max_flat_workgroup_size: 112
    .name:           _ZN9rocsparseL22gebsrmvn_mxn_16_kernelILj112ELj16ELj7E21rocsparse_complex_numIdEEEvi20rocsparse_direction_NS_24const_host_device_scalarIT2_EEPKiS8_PKS5_iiSA_S6_PS5_21rocsparse_index_base_b
    .private_segment_fixed_size: 0
    .sgpr_count:     20
    .sgpr_spill_count: 0
    .symbol:         _ZN9rocsparseL22gebsrmvn_mxn_16_kernelILj112ELj16ELj7E21rocsparse_complex_numIdEEEvi20rocsparse_direction_NS_24const_host_device_scalarIT2_EEPKiS8_PKS5_iiSA_S6_PS5_21rocsparse_index_base_b.kd
    .uniform_work_group_size: 1
    .uses_dynamic_stack: false
    .vgpr_count:     28
    .vgpr_spill_count: 0
    .wavefront_size: 32
    .workgroup_processor_mode: 1
  - .args:
      - .offset:         0
        .size:           4
        .value_kind:     by_value
      - .offset:         4
        .size:           4
        .value_kind:     by_value
      - .offset:         8
        .size:           16
        .value_kind:     by_value
      - .actual_access:  read_only
        .address_space:  global
        .offset:         24
        .size:           8
        .value_kind:     global_buffer
      - .actual_access:  read_only
        .address_space:  global
        .offset:         32
        .size:           8
        .value_kind:     global_buffer
      - .actual_access:  read_only
        .address_space:  global
        .offset:         40
        .size:           8
        .value_kind:     global_buffer
      - .offset:         48
        .size:           4
        .value_kind:     by_value
      - .offset:         52
        .size:           4
        .value_kind:     by_value
      - .actual_access:  read_only
        .address_space:  global
        .offset:         56
        .size:           8
        .value_kind:     global_buffer
      - .offset:         64
        .size:           16
        .value_kind:     by_value
      - .address_space:  global
        .offset:         80
        .size:           8
        .value_kind:     global_buffer
      - .offset:         88
        .size:           4
        .value_kind:     by_value
      - .offset:         92
        .size:           1
        .value_kind:     by_value
    .group_segment_fixed_size: 4096
    .kernarg_segment_align: 8
    .kernarg_segment_size: 96
    .language:       OpenCL C
    .language_version:
      - 2
      - 0
    .max_flat_workgroup_size: 128
    .name:           _ZN9rocsparseL22gebsrmvn_mxn_16_kernelILj128ELj16ELj8E21rocsparse_complex_numIdEEEvi20rocsparse_direction_NS_24const_host_device_scalarIT2_EEPKiS8_PKS5_iiSA_S6_PS5_21rocsparse_index_base_b
    .private_segment_fixed_size: 0
    .sgpr_count:     20
    .sgpr_spill_count: 0
    .symbol:         _ZN9rocsparseL22gebsrmvn_mxn_16_kernelILj128ELj16ELj8E21rocsparse_complex_numIdEEEvi20rocsparse_direction_NS_24const_host_device_scalarIT2_EEPKiS8_PKS5_iiSA_S6_PS5_21rocsparse_index_base_b.kd
    .uniform_work_group_size: 1
    .uses_dynamic_stack: false
    .vgpr_count:     26
    .vgpr_spill_count: 0
    .wavefront_size: 32
    .workgroup_processor_mode: 1
amdhsa.target:   amdgcn-amd-amdhsa--gfx1100
amdhsa.version:
  - 1
  - 2
...

	.end_amdgpu_metadata
